;; amdgpu-corpus repo=ROCm/rocFFT kind=compiled arch=gfx950 opt=O3
	.text
	.amdgcn_target "amdgcn-amd-amdhsa--gfx950"
	.amdhsa_code_object_version 6
	.protected	bluestein_single_fwd_len700_dim1_sp_op_CI_CI ; -- Begin function bluestein_single_fwd_len700_dim1_sp_op_CI_CI
	.globl	bluestein_single_fwd_len700_dim1_sp_op_CI_CI
	.p2align	8
	.type	bluestein_single_fwd_len700_dim1_sp_op_CI_CI,@function
bluestein_single_fwd_len700_dim1_sp_op_CI_CI: ; @bluestein_single_fwd_len700_dim1_sp_op_CI_CI
; %bb.0:
	s_load_dwordx4 s[4:7], s[0:1], 0x28
	v_mul_u32_u24_e32 v1, 0x290, v0
	v_add_u32_sdwa v58, s2, v1 dst_sel:DWORD dst_unused:UNUSED_PAD src0_sel:DWORD src1_sel:WORD_1
	v_mov_b32_e32 v59, 0
	s_waitcnt lgkmcnt(0)
	v_cmp_gt_u64_e32 vcc, s[4:5], v[58:59]
	s_and_saveexec_b64 s[2:3], vcc
	s_cbranch_execz .LBB0_23
; %bb.1:
	s_load_dwordx2 s[12:13], s[0:1], 0x0
	s_load_dwordx2 s[14:15], s[0:1], 0x38
	s_movk_i32 s2, 0x64
	v_mul_lo_u16_sdwa v1, v1, s2 dst_sel:DWORD dst_unused:UNUSED_PAD src0_sel:WORD_1 src1_sel:DWORD
	v_sub_u16_e32 v59, v0, v1
	s_movk_i32 s2, 0x45
	s_movk_i32 s4, 0x46
	v_cmp_lt_u16_e64 s[2:3], s2, v59
	v_cmp_gt_u16_e64 s[4:5], s4, v59
	v_lshlrev_b32_e32 v56, 3, v59
	s_and_saveexec_b64 s[16:17], s[4:5]
	s_cbranch_execz .LBB0_3
; %bb.2:
	s_load_dwordx2 s[8:9], s[0:1], 0x18
	v_mov_b32_e32 v0, s6
	v_mov_b32_e32 v1, s7
	;; [unrolled: 1-line block ×4, first 2 shown]
	s_waitcnt lgkmcnt(0)
	s_load_dwordx4 s[8:11], s[8:9], 0x0
	s_waitcnt lgkmcnt(0)
	v_mad_u64_u32 v[2:3], s[6:7], s10, v58, 0
	v_mad_u64_u32 v[4:5], s[6:7], s8, v59, 0
	v_mov_b32_e32 v6, v3
	v_mov_b32_e32 v8, v5
	v_mad_u64_u32 v[6:7], s[6:7], s11, v58, v[6:7]
	v_mov_b32_e32 v3, v6
	v_mad_u64_u32 v[6:7], s[6:7], s9, v59, v[8:9]
	v_mov_b32_e32 v5, v6
	v_lshl_add_u64 v[0:1], v[2:3], 3, v[0:1]
	v_lshl_add_u64 v[0:1], v[4:5], 3, v[0:1]
	global_load_dwordx2 v[2:3], v[0:1], off
	v_mad_u64_u32 v[0:1], s[6:7], s8, v40, v[0:1]
	s_mulk_i32 s9, 0x230
	v_add_u32_e32 v1, s9, v1
	v_mad_u64_u32 v[10:11], s[6:7], s8, v40, v[0:1]
	v_add_u32_e32 v11, s9, v11
	v_mad_u64_u32 v[12:13], s[6:7], s8, v40, v[10:11]
	;; [unrolled: 2-line block ×3, first 2 shown]
	v_add_u32_e32 v15, s9, v15
	global_load_dwordx2 v[6:7], v56, s[12:13]
	global_load_dwordx2 v[8:9], v56, s[12:13] offset:560
	global_load_dwordx2 v[16:17], v[0:1], off
	global_load_dwordx2 v[18:19], v[10:11], off
	;; [unrolled: 1-line block ×4, first 2 shown]
	global_load_dwordx2 v[24:25], v56, s[12:13] offset:1120
	v_mad_u64_u32 v[0:1], s[6:7], s8, v40, v[14:15]
	v_add_u32_e32 v1, s9, v1
	global_load_dwordx2 v[10:11], v[0:1], off
	global_load_dwordx2 v[12:13], v56, s[12:13] offset:1680
	global_load_dwordx2 v[14:15], v56, s[12:13] offset:2240
	;; [unrolled: 1-line block ×3, first 2 shown]
	v_mad_u64_u32 v[0:1], s[6:7], s8, v40, v[0:1]
	v_add_u32_e32 v1, s9, v1
	global_load_dwordx2 v[28:29], v[0:1], off
	v_mad_u64_u32 v[0:1], s[6:7], s8, v40, v[0:1]
	v_add_u32_e32 v1, s9, v1
	global_load_dwordx2 v[30:31], v[0:1], off
	global_load_dwordx2 v[32:33], v56, s[12:13] offset:3360
	global_load_dwordx2 v[34:35], v56, s[12:13] offset:3920
	v_mad_u64_u32 v[0:1], s[6:7], s8, v40, v[0:1]
	v_lshl_add_u64 v[4:5], s[12:13], 0, v[56:57]
	s_movk_i32 s6, 0x1000
	v_add_u32_e32 v1, s9, v1
	v_add_co_u32_e32 v4, vcc, s6, v4
	global_load_dwordx2 v[36:37], v[0:1], off
	s_nop 0
	v_addc_co_u32_e32 v5, vcc, 0, v5, vcc
	v_mad_u64_u32 v[0:1], s[6:7], s8, v40, v[0:1]
	global_load_dwordx2 v[38:39], v[4:5], off offset:384
	v_add_u32_e32 v1, s9, v1
	global_load_dwordx2 v[40:41], v[4:5], off offset:944
	global_load_dwordx2 v[42:43], v[0:1], off
	v_add_u32_e32 v4, 0x800, v56
	s_waitcnt vmcnt(18)
	v_mul_f32_e32 v0, v3, v7
	v_mul_f32_e32 v1, v2, v7
	v_fmac_f32_e32 v0, v2, v6
	v_fma_f32 v1, v3, v6, -v1
	s_waitcnt vmcnt(16)
	v_mul_f32_e32 v2, v17, v9
	v_mul_f32_e32 v3, v16, v9
	v_fmac_f32_e32 v2, v16, v8
	v_fma_f32 v3, v17, v8, -v3
	ds_write2_b64 v56, v[0:1], v[2:3] offset1:70
	s_waitcnt vmcnt(12)
	v_mul_f32_e32 v0, v19, v25
	v_mul_f32_e32 v1, v18, v25
	s_waitcnt vmcnt(10)
	v_mul_f32_e32 v2, v21, v13
	v_mul_f32_e32 v3, v20, v13
	v_fmac_f32_e32 v0, v18, v24
	v_fma_f32 v1, v19, v24, -v1
	v_fmac_f32_e32 v2, v20, v12
	v_fma_f32 v3, v21, v12, -v3
	ds_write2_b64 v56, v[0:1], v[2:3] offset0:140 offset1:210
	s_waitcnt vmcnt(9)
	v_mul_f32_e32 v0, v23, v15
	v_mul_f32_e32 v1, v22, v15
	s_waitcnt vmcnt(8)
	v_mul_f32_e32 v2, v11, v27
	v_mul_f32_e32 v3, v10, v27
	v_fmac_f32_e32 v0, v22, v14
	v_fma_f32 v1, v23, v14, -v1
	v_fmac_f32_e32 v2, v10, v26
	v_fma_f32 v3, v11, v26, -v3
	ds_write2_b64 v4, v[0:1], v[2:3] offset0:24 offset1:94
	;; [unrolled: 11-line block ×3, first 2 shown]
	s_waitcnt vmcnt(2)
	v_mul_f32_e32 v0, v37, v39
	v_mul_f32_e32 v1, v36, v39
	s_waitcnt vmcnt(0)
	v_mul_f32_e32 v2, v43, v41
	v_mul_f32_e32 v3, v42, v41
	v_fmac_f32_e32 v0, v36, v38
	v_fma_f32 v1, v37, v38, -v1
	v_fmac_f32_e32 v2, v42, v40
	v_fma_f32 v3, v43, v40, -v3
	v_add_u32_e32 v4, 0x1000, v56
	ds_write2_b64 v4, v[0:1], v[2:3] offset0:48 offset1:118
.LBB0_3:
	s_or_b64 exec, exec, s[16:17]
	s_load_dwordx2 s[8:9], s[0:1], 0x20
	s_load_dwordx2 s[6:7], s[0:1], 0x8
	s_waitcnt lgkmcnt(0)
	s_barrier
	s_waitcnt lgkmcnt(0)
                                        ; implicit-def: $vgpr4
                                        ; implicit-def: $vgpr16
                                        ; implicit-def: $vgpr12
                                        ; implicit-def: $vgpr8
                                        ; implicit-def: $vgpr0
	s_and_saveexec_b64 s[0:1], s[4:5]
	s_cbranch_execz .LBB0_5
; %bb.4:
	v_add_u32_e32 v4, 0x800, v56
	v_add_u32_e32 v16, 0x1000, v56
	ds_read2_b64 v[0:3], v56 offset1:70
	ds_read2_b64 v[8:11], v56 offset0:140 offset1:210
	ds_read2_b64 v[12:15], v4 offset0:24 offset1:94
	;; [unrolled: 1-line block ×4, first 2 shown]
.LBB0_5:
	s_or_b64 exec, exec, s[0:1]
	s_waitcnt lgkmcnt(1)
	v_pk_add_f32 v[30:31], v[12:13], v[4:5] neg_lo:[0,1] neg_hi:[0,1]
	s_waitcnt lgkmcnt(0)
	v_pk_add_f32 v[20:21], v[16:17], v[8:9]
	s_mov_b32 s10, 0x3f737871
	s_mov_b32 s0, 0x3f167918
	v_pk_add_f32 v[28:29], v[8:9], v[16:17] neg_lo:[0,1] neg_hi:[0,1]
	v_pk_add_f32 v[22:23], v[12:13], v[8:9] neg_lo:[0,1] neg_hi:[0,1]
	;; [unrolled: 1-line block ×3, first 2 shown]
	v_pk_fma_f32 v[20:21], v[20:21], 0.5, v[0:1] op_sel_hi:[1,0,1] neg_lo:[1,0,0] neg_hi:[1,0,0]
	v_pk_mul_f32 v[40:41], v[30:31], s[10:11] op_sel_hi:[1,0]
	s_mov_b32 s1, 0xbf167918
	v_pk_add_f32 v[26:27], v[14:15], v[6:7] neg_lo:[0,1] neg_hi:[0,1]
	v_pk_add_f32 v[34:35], v[10:11], v[18:19]
	v_pk_mul_f32 v[42:43], v[28:29], s[0:1] op_sel_hi:[1,0]
	v_pk_add_f32 v[24:25], v[24:25], v[22:23]
	v_pk_add_f32 v[22:23], v[20:21], v[40:41] op_sel:[0,1] op_sel_hi:[1,0] neg_lo:[0,1] neg_hi:[0,1]
	v_pk_add_f32 v[20:21], v[20:21], v[40:41] op_sel:[0,1] op_sel_hi:[1,0]
	v_pk_add_f32 v[32:33], v[10:11], v[18:19] neg_lo:[0,1] neg_hi:[0,1]
	v_pk_add_f32 v[36:37], v[14:15], v[10:11] neg_lo:[0,1] neg_hi:[0,1]
	;; [unrolled: 1-line block ×3, first 2 shown]
	v_pk_add_f32 v[40:41], v[20:21], v[42:43] op_sel:[0,1] op_sel_hi:[1,0] neg_lo:[0,1] neg_hi:[0,1]
	v_pk_add_f32 v[42:43], v[22:23], v[42:43] op_sel:[0,1] op_sel_hi:[1,0]
	v_pk_fma_f32 v[22:23], v[34:35], 0.5, v[2:3] op_sel_hi:[1,0,1] neg_lo:[1,0,0] neg_hi:[1,0,0]
	v_pk_mul_f32 v[34:35], v[26:27], s[10:11] op_sel_hi:[1,0]
	v_pk_mul_f32 v[44:45], v[32:33], s[0:1] op_sel_hi:[1,0]
	v_pk_add_f32 v[36:37], v[36:37], v[38:39]
	v_pk_add_f32 v[38:39], v[22:23], v[34:35] op_sel:[0,1] op_sel_hi:[1,0] neg_lo:[0,1] neg_hi:[0,1]
	v_pk_add_f32 v[22:23], v[22:23], v[34:35] op_sel:[0,1] op_sel_hi:[1,0]
	v_pk_add_f32 v[38:39], v[38:39], v[44:45] op_sel:[0,1] op_sel_hi:[1,0]
	v_pk_add_f32 v[34:35], v[22:23], v[44:45] op_sel:[0,1] op_sel_hi:[1,0] neg_lo:[0,1] neg_hi:[0,1]
	s_mov_b32 s16, 0x3e9e377a
	v_mov_b32_e32 v23, v35
	v_mov_b32_e32 v35, v39
	;; [unrolled: 1-line block ×3, first 2 shown]
	v_pk_fma_f32 v[34:35], v[36:37], s[16:17], v[34:35] op_sel_hi:[1,0,1]
	v_pk_fma_f32 v[44:45], v[36:37], s[16:17], v[22:23] op_sel_hi:[1,0,1]
	s_mov_b32 s18, 0xbf737871
	s_mov_b32 s19, s10
	v_pk_mul_f32 v[36:37], v[34:35], s[16:17] op_sel_hi:[1,0]
	v_mov_b32_e32 v20, v42
	v_mov_b32_e32 v21, v41
	;; [unrolled: 1-line block ×3, first 2 shown]
	v_pk_fma_f32 v[42:43], v[34:35], s[18:19], v[36:37] op_sel:[0,0,1] op_sel_hi:[1,1,0] neg_lo:[0,0,1] neg_hi:[0,0,1]
	v_pk_add_f32 v[34:35], v[4:5], v[12:13]
	v_pk_mul_f32 v[28:29], v[28:29], s[10:11] op_sel_hi:[1,0]
	v_pk_fma_f32 v[34:35], v[34:35], 0.5, v[0:1] op_sel_hi:[1,0,1] neg_lo:[1,0,0] neg_hi:[1,0,0]
	v_pk_fma_f32 v[20:21], v[24:25], s[16:17], v[20:21] op_sel_hi:[1,0,1]
	v_pk_fma_f32 v[24:25], v[24:25], s[16:17], v[40:41] op_sel_hi:[1,0,1]
	v_pk_mul_f32 v[48:49], v[30:31], s[0:1] op_sel_hi:[1,0]
	v_pk_add_f32 v[30:31], v[8:9], v[12:13] neg_lo:[0,1] neg_hi:[0,1]
	v_pk_add_f32 v[36:37], v[16:17], v[4:5] neg_lo:[0,1] neg_hi:[0,1]
	v_pk_add_f32 v[38:39], v[34:35], v[28:29] op_sel:[0,1] op_sel_hi:[1,0] neg_lo:[0,1] neg_hi:[0,1]
	v_pk_add_f32 v[40:41], v[34:35], v[28:29] op_sel:[0,1] op_sel_hi:[1,0]
	v_pk_add_f32 v[50:51], v[36:37], v[30:31]
	v_pk_add_f32 v[28:29], v[38:39], v[48:49] op_sel:[0,1] op_sel_hi:[1,0] neg_lo:[0,1] neg_hi:[0,1]
	v_pk_add_f32 v[30:31], v[40:41], v[48:49] op_sel:[0,1] op_sel_hi:[1,0]
	v_pk_mul_f32 v[46:47], v[44:45], s[10:11] op_sel_hi:[1,0]
	v_mov_b32_e32 v29, v31
	v_pk_fma_f32 v[34:35], v[50:51], s[16:17], v[28:29] op_sel_hi:[1,0,1]
	v_pk_add_f32 v[28:29], v[14:15], v[6:7]
	v_pk_fma_f32 v[22:23], v[44:45], s[16:17], v[46:47] op_sel:[0,0,1] op_sel_hi:[1,0,0]
	v_pk_fma_f32 v[44:45], v[44:45], s[16:17], v[46:47] op_sel:[0,0,1] op_sel_hi:[1,0,0] neg_lo:[0,0,1] neg_hi:[0,0,1]
	v_pk_fma_f32 v[28:29], v[28:29], 0.5, v[2:3] op_sel_hi:[1,0,1] neg_lo:[1,0,0] neg_hi:[1,0,0]
	v_pk_add_f32 v[30:31], v[10:11], v[14:15] neg_lo:[0,1] neg_hi:[0,1]
	v_pk_add_f32 v[36:37], v[18:19], v[6:7] neg_lo:[0,1] neg_hi:[0,1]
	v_mov_b32_e32 v23, v45
	v_pk_add_f32 v[30:31], v[30:31], v[36:37]
	v_pk_fma_f32 v[44:45], v[32:33], s[10:11], v[28:29] op_sel:[0,0,1] op_sel_hi:[1,0,0]
	v_pk_fma_f32 v[46:47], v[32:33], s[10:11], v[28:29] op_sel:[0,0,1] op_sel_hi:[1,0,0] neg_lo:[1,0,0] neg_hi:[1,0,0]
	v_pk_mul_f32 v[52:53], v[30:31], s[16:17] op_sel_hi:[1,0]
	v_pk_fma_f32 v[28:29], v[26:27], s[0:1], v[44:45] op_sel_hi:[1,0,1]
	v_pk_fma_f32 v[30:31], v[26:27], s[0:1], v[46:47] op_sel_hi:[1,0,1] neg_lo:[1,0,0] neg_hi:[1,0,0]
	s_mov_b32 s18, 0x3f4f1bbd
	v_mov_b32_e32 v29, v31
	v_pk_add_f32 v[28:29], v[52:53], v[28:29] op_sel:[1,0] op_sel_hi:[0,1]
	v_pk_mul_f32 v[30:31], v[28:29], s[18:19] op_sel_hi:[1,0]
	v_mul_lo_u16_e32 v88, 10, v59
	v_pk_fma_f32 v[36:37], v[28:29], s[0:1], v[30:31] op_sel:[0,0,1] op_sel_hi:[1,1,0] neg_lo:[0,0,1] neg_hi:[0,0,1]
	v_pk_add_f32 v[28:29], v[20:21], v[22:23] neg_lo:[0,1] neg_hi:[0,1]
	v_pk_add_f32 v[30:31], v[24:25], v[42:43] op_sel:[0,1] op_sel_hi:[1,0] neg_lo:[0,1] neg_hi:[0,1]
	v_pk_add_f32 v[32:33], v[34:35], v[36:37] neg_lo:[0,1] neg_hi:[0,1]
	s_barrier
	s_and_saveexec_b64 s[10:11], s[4:5]
	s_cbranch_execz .LBB0_7
; %bb.6:
	v_pk_add_f32 v[0:1], v[8:9], v[0:1]
	v_pk_mul_f32 v[26:27], v[26:27], s[0:1] op_sel_hi:[1,0]
	v_pk_add_f32 v[0:1], v[12:13], v[0:1]
	v_pk_add_f32 v[8:9], v[46:47], v[26:27] neg_lo:[0,1] neg_hi:[0,1]
	v_pk_add_f32 v[0:1], v[4:5], v[0:1]
	v_mov_b32_e32 v54, v43
	v_pk_add_f32 v[4:5], v[16:17], v[0:1]
	v_pk_add_f32 v[0:1], v[10:11], v[2:3]
	;; [unrolled: 1-line block ×3, first 2 shown]
	v_mov_b32_e32 v55, v42
	v_mov_b32_e32 v42, v49
	;; [unrolled: 1-line block ×3, first 2 shown]
	v_pk_mul_f32 v[48:49], v[50:51], s[16:17] op_sel_hi:[1,0]
	v_mov_b32_e32 v50, v53
	v_mov_b32_e32 v51, v52
	;; [unrolled: 1-line block ×3, first 2 shown]
	v_pk_add_f32 v[2:3], v[50:51], v[8:9]
	v_pk_add_f32 v[8:9], v[40:41], v[42:43]
	v_pk_add_f32 v[10:11], v[38:39], v[42:43] neg_lo:[0,1] neg_hi:[0,1]
	v_pk_add_f32 v[0:1], v[14:15], v[0:1]
	v_mov_b32_e32 v9, v11
	v_pk_mul_f32 v[10:11], v[2:3], s[0:1] op_sel_hi:[1,0]
	v_pk_add_f32 v[0:1], v[6:7], v[0:1]
	v_pk_fma_f32 v[12:13], v[2:3], s[18:19], v[10:11] op_sel:[0,0,1] op_sel_hi:[1,0,0]
	v_pk_fma_f32 v[2:3], v[2:3], s[18:19], v[10:11] op_sel:[0,0,1] op_sel_hi:[1,0,0] neg_lo:[0,0,1] neg_hi:[0,0,1]
	v_pk_add_f32 v[6:7], v[18:19], v[0:1]
	v_pk_add_f32 v[8:9], v[48:49], v[8:9]
	v_mov_b32_e32 v10, v13
	v_mov_b32_e32 v11, v2
	v_lshlrev_b32_e32 v52, 3, v88
	v_pk_add_f32 v[0:1], v[6:7], v[4:5]
	v_pk_add_f32 v[2:3], v[8:9], v[10:11]
	ds_write_b128 v52, v[0:3]
	v_pk_add_f32 v[0:1], v[20:21], v[22:23]
	v_pk_add_f32 v[2:3], v[24:25], v[54:55]
	ds_write_b128 v52, v[0:3] offset:16
	v_pk_add_f32 v[0:1], v[34:35], v[36:37]
	v_pk_add_f32 v[2:3], v[4:5], v[6:7] neg_lo:[0,1] neg_hi:[0,1]
	v_pk_add_f32 v[26:27], v[8:9], v[10:11] neg_lo:[0,1] neg_hi:[0,1]
	ds_write_b128 v52, v[0:3] offset:32
	ds_write_b128 v52, v[26:29] offset:48
	;; [unrolled: 1-line block ×3, first 2 shown]
.LBB0_7:
	s_or_b64 exec, exec, s[10:11]
	s_movk_i32 s0, 0xcd
	v_mul_lo_u16_sdwa v0, v59, s0 dst_sel:DWORD dst_unused:UNUSED_PAD src0_sel:BYTE_0 src1_sel:DWORD
	v_lshrrev_b16_e32 v57, 11, v0
	v_mul_lo_u16_e32 v0, 10, v57
	v_sub_u16_e32 v0, v59, v0
	v_and_b32_e32 v68, 0xff, v0
	v_mul_u32_u24_e32 v0, 6, v68
	v_lshlrev_b32_e32 v12, 3, v0
	s_load_dwordx4 s[8:11], s[8:9], 0x0
	s_waitcnt lgkmcnt(0)
	s_barrier
	global_load_dwordx4 v[0:3], v12, s[6:7] offset:16
	global_load_dwordx4 v[4:7], v12, s[6:7] offset:32
	global_load_dwordx4 v[8:11], v12, s[6:7]
	v_add_u32_e32 v16, 0x400, v56
	v_add_u32_e32 v20, 0x800, v56
	ds_read2_b64 v[12:15], v56 offset1:100
	ds_read_b64 v[24:25], v56 offset:4800
	ds_read2_b64 v[16:19], v16 offset0:72 offset1:172
	ds_read2_b64 v[20:23], v20 offset0:144 offset1:244
	s_mov_b32 s0, 0x3d64c772
	s_mov_b32 s1, 0x3f4a47b2
	s_waitcnt lgkmcnt(2)
	v_mov_b32_e32 v39, v24
	v_mov_b32_e32 v35, v15
	s_waitcnt lgkmcnt(1)
	v_mov_b32_e32 v40, v19
	v_mov_b32_e32 v19, v16
	s_waitcnt lgkmcnt(0)
	v_mov_b32_e32 v34, v21
	v_mov_b32_e32 v27, v14
	v_mov_b32_e32 v37, v14
	v_mov_b32_e32 v41, v17
	;; [unrolled: 1-line block ×8, first 2 shown]
	s_mov_b32 s18, 0x3f3bfb3b
	s_mov_b32 s22, 0xbf08b237
	;; [unrolled: 1-line block ×8, first 2 shown]
	s_barrier
	s_waitcnt vmcnt(2)
	v_mov_b32_e32 v42, v1
	v_mov_b32_e32 v48, v3
	s_waitcnt vmcnt(0)
	v_mov_b32_e32 v43, v11
	v_mov_b32_e32 v49, v9
	;; [unrolled: 1-line block ×10, first 2 shown]
	v_pk_mul_f32 v[48:49], v[34:35], v[48:49]
	v_pk_mul_f32 v[42:43], v[18:19], v[42:43]
	v_mov_b32_e32 v35, v22
	v_mov_b32_e32 v61, v4
	;; [unrolled: 1-line block ×9, first 2 shown]
	v_pk_mul_f32 v[36:37], v[36:37], v[62:63]
	v_pk_mul_f32 v[38:39], v[38:39], v[64:65]
	v_pk_fma_f32 v[16:17], v[40:41], v[16:17], v[42:43]
	v_pk_mul_f32 v[34:35], v[34:35], v[2:3]
	v_mov_b32_e32 v41, v25
	v_mov_b32_e32 v46, v2
	;; [unrolled: 1-line block ×6, first 2 shown]
	v_pk_fma_f32 v[24:25], v[14:15], v[44:45], v[36:37]
	v_pk_fma_f32 v[14:15], v[14:15], v[54:55], v[36:37] neg_lo:[0,0,1] neg_hi:[0,0,1]
	v_pk_fma_f32 v[36:37], v[22:23], v[66:67], v[38:39]
	v_pk_fma_f32 v[22:23], v[22:23], v[66:67], v[38:39] neg_lo:[0,0,1] neg_hi:[0,0,1]
	v_pk_fma_f32 v[20:21], v[20:21], v[60:61], v[34:35]
	v_pk_mul_f32 v[34:35], v[40:41], v[52:53]
	v_pk_fma_f32 v[26:27], v[26:27], v[46:47], v[48:49] neg_lo:[0,0,1] neg_hi:[0,0,1]
	v_mov_b32_e32 v15, v25
	v_mov_b32_e32 v23, v37
	v_pk_fma_f32 v[18:19], v[18:19], v[50:51], v[34:35] neg_lo:[0,0,1] neg_hi:[0,0,1]
	v_mov_b32_e32 v39, v14
	v_mov_b32_e32 v41, v22
	v_pk_add_f32 v[14:15], v[14:15], v[22:23]
	v_pk_add_f32 v[22:23], v[26:27], v[18:19] neg_lo:[0,1] neg_hi:[0,1]
	v_pk_add_f32 v[18:19], v[26:27], v[18:19]
	v_mov_b32_e32 v38, v17
	v_pk_add_f32 v[34:35], v[16:17], v[20:21]
	v_mov_b32_e32 v40, v21
	v_mov_b32_e32 v26, v14
	;; [unrolled: 1-line block ×3, first 2 shown]
	v_pk_add_f32 v[38:39], v[38:39], v[40:41] neg_lo:[0,1] neg_hi:[0,1]
	v_pk_add_f32 v[26:27], v[18:19], v[26:27] neg_lo:[0,1] neg_hi:[0,1]
	v_mov_b32_e32 v46, v19
	v_mov_b32_e32 v47, v35
	;; [unrolled: 1-line block ×6, first 2 shown]
	v_sub_f32_e32 v3, v39, v23
	v_pk_mul_f32 v[44:45], v[26:27], s[0:1]
	v_pk_add_f32 v[46:47], v[46:47], v[14:15]
	v_mov_b32_e32 v48, v19
	v_mov_b32_e32 v49, v34
	;; [unrolled: 1-line block ×3, first 2 shown]
	v_pk_add_f32 v[40:41], v[34:35], v[40:41] neg_lo:[0,1] neg_hi:[0,1]
	v_pk_add_f32 v[42:43], v[22:23], v[42:43] neg_lo:[0,1] neg_hi:[0,1]
	;; [unrolled: 1-line block ×3, first 2 shown]
	v_pk_add_f32 v[18:19], v[18:19], v[46:47]
	v_mul_f32_e32 v4, 0x3f5ff5aa, v3
	v_mov_b32_e32 v3, v44
	v_mov_b32_e32 v24, v25
	;; [unrolled: 1-line block ×5, first 2 shown]
	v_pk_add_f32 v[34:35], v[12:13], v[18:19]
	v_pk_mul_f32 v[12:13], v[14:15], s[18:19]
	v_pk_mul_f32 v[46:47], v[40:41], s[20:21]
	;; [unrolled: 1-line block ×3, first 2 shown]
	v_pk_fma_f32 v[26:27], v[26:27], s[0:1], v[2:3]
	v_pk_add_f32 v[16:17], v[24:25], v[20:21] neg_lo:[0,1] neg_hi:[0,1]
	v_sub_f32_e64 v26, -v45, v12
	v_xor_b32_e32 v13, 0x80000000, v13
	v_mov_b32_e32 v12, v47
	v_mov_b32_e32 v3, v48
	;; [unrolled: 1-line block ×4, first 2 shown]
	v_pk_fma_f32 v[18:19], v[18:19], s[16:17], v[34:35] op_sel_hi:[1,0,1]
	v_pk_fma_f32 v[12:13], v[40:41], s[20:21], v[12:13] neg_lo:[1,0,0] neg_hi:[1,0,0]
	v_pk_fma_f32 v[40:41], v[42:43], s[22:23], v[2:3]
	v_mov_b32_e32 v20, v17
	v_mov_b32_e32 v21, v22
	v_pk_add_f32 v[24:25], v[16:17], v[24:25] neg_lo:[0,1] neg_hi:[0,1]
	v_sub_f32_e32 v3, v38, v16
	s_mov_b32 s16, s23
	s_mov_b32 s17, s22
	v_pk_fma_f32 v[42:43], v[42:43], s[22:23], v[4:5] op_sel_hi:[1,1,0] neg_lo:[1,0,0] neg_hi:[1,0,1]
	v_pk_add_f32 v[20:21], v[20:21], v[38:39]
	v_mov_b32_e32 v17, v23
	v_pk_mul_f32 v[22:23], v[24:25], s[16:17]
	v_mul_f32_e32 v4, 0x3f5ff5aa, v3
	v_pk_fma_f32 v[50:51], v[14:15], s[18:19], v[46:47] op_sel:[0,0,1] op_sel_hi:[1,1,0]
	v_pk_fma_f32 v[14:15], v[14:15], s[18:19], v[44:45] neg_lo:[0,0,1] neg_hi:[0,0,1]
	v_pk_add_f32 v[16:17], v[20:21], v[16:17]
	s_mov_b32 s0, 0x3ee1c552
	v_xor_b32_e32 v36, 0x80000000, v4
	v_mov_b32_e32 v37, v22
	v_mov_b32_e32 v15, v51
	v_pk_mul_f32 v[20:21], v[16:17], s[0:1] op_sel_hi:[1,0]
	v_fma_f32 v40, v3, s24, -v23
	v_pk_fma_f32 v[22:23], v[24:25], s[16:17], v[36:37] neg_lo:[1,0,0] neg_hi:[1,0,0]
	v_pk_fma_f32 v[24:25], v[24:25], s[16:17], v[36:37]
	v_pk_add_f32 v[14:15], v[14:15], v[18:19]
	v_pk_add_f32 v[12:13], v[12:13], v[18:19] op_sel:[0,1]
	v_mov_b32_e32 v23, v25
	v_pk_fma_f32 v[16:17], v[16:17], s[0:1], v[40:41] op_sel_hi:[1,0,1]
	v_pk_add_f32 v[24:25], v[20:21], v[42:43] op_sel:[1,0]
	v_pk_add_f32 v[18:19], v[26:27], v[18:19] op_sel_hi:[1,0]
	v_pk_add_f32 v[20:21], v[20:21], v[22:23] op_sel_hi:[0,1]
	v_mov_b32_e32 v22, v13
	v_mov_b32_e32 v23, v15
	;; [unrolled: 1-line block ×4, first 2 shown]
	v_pk_add_f32 v[44:45], v[20:21], v[18:19]
	v_pk_add_f32 v[36:37], v[22:23], v[26:27] neg_lo:[0,1] neg_hi:[0,1]
	v_mov_b32_e32 v22, v14
	v_mov_b32_e32 v23, v18
	;; [unrolled: 1-line block ×4, first 2 shown]
	v_pk_add_f32 v[42:43], v[24:25], v[12:13]
	v_mov_b32_e32 v13, v19
	v_mov_b32_e32 v25, v21
	v_mul_u32_u24_e32 v3, 0x46, v57
	v_pk_add_f32 v[40:41], v[22:23], v[26:27] neg_lo:[0,1] neg_hi:[0,1]
	v_pk_add_f32 v[48:49], v[12:13], v[24:25] neg_lo:[0,1] neg_hi:[0,1]
	v_add_lshl_u32 v4, v3, v68, 3
	v_mov_b32_e32 v12, v45
	v_mov_b32_e32 v13, v37
	v_pk_add_f32 v[46:47], v[16:17], v[14:15]
	ds_write2_b64 v4, v[34:35], v[12:13] offset1:10
	v_mov_b32_e32 v12, v44
	v_mov_b32_e32 v13, v36
	;; [unrolled: 1-line block ×4, first 2 shown]
	ds_write2_b64 v4, v[12:13], v[14:15] offset0:20 offset1:30
	v_mov_b32_e32 v12, v46
	v_mov_b32_e32 v13, v48
	;; [unrolled: 1-line block ×4, first 2 shown]
	ds_write2_b64 v4, v[12:13], v[14:15] offset0:40 offset1:50
	v_mov_b32_e32 v12, v49
	v_mov_b32_e32 v13, v47
	ds_write_b64 v4, v[12:13] offset:480
	s_waitcnt lgkmcnt(0)
	s_barrier
	s_and_saveexec_b64 s[0:1], s[2:3]
	s_xor_b64 s[0:1], exec, s[0:1]
	s_andn2_saveexec_b64 s[0:1], s[0:1]
	s_cbranch_execz .LBB0_9
; %bb.8:
	v_add_u32_e32 v3, 0x800, v56
	ds_read2_b64 v[34:37], v56 offset1:70
	ds_read2_b64 v[38:41], v56 offset0:140 offset1:210
	ds_read2_b64 v[12:15], v3 offset0:24 offset1:94
	;; [unrolled: 1-line block ×3, first 2 shown]
	v_add_u32_e32 v3, 0x1000, v56
	ds_read2_b64 v[30:33], v3 offset0:48 offset1:118
	s_waitcnt lgkmcnt(4)
	v_mov_b32_e32 v45, v36
	s_waitcnt lgkmcnt(3)
	v_mov_b32_e32 v42, v41
	;; [unrolled: 2-line block ×3, first 2 shown]
	v_mov_b32_e32 v46, v12
	s_waitcnt lgkmcnt(1)
	v_mov_b32_e32 v47, v27
	v_mov_b32_e32 v44, v38
	;; [unrolled: 1-line block ×6, first 2 shown]
.LBB0_9:
	s_or_b64 exec, exec, s[0:1]
	v_add_u32_e32 v3, 0xffffffba, v59
	v_cndmask_b32_e64 v3, v3, v59, s[4:5]
	v_mul_hi_i32_i24_e32 v13, 0x48, v3
	v_mul_i32_i24_e32 v12, 0x48, v3
	v_lshl_add_u64 v[38:39], s[6:7], 0, v[12:13]
	global_load_dwordx4 v[12:15], v[38:39], off offset:480
	global_load_dwordx4 v[16:19], v[38:39], off offset:528
	global_load_dwordx2 v[62:63], v[38:39], off offset:544
	global_load_dwordx4 v[24:27], v[38:39], off offset:496
	global_load_dwordx4 v[20:23], v[38:39], off offset:512
	v_mov_b32_e32 v38, v45
	v_mov_b32_e32 v50, v37
	s_mov_b32 s0, 0x3f737871
	s_mov_b32 s6, 0x3f167918
	;; [unrolled: 1-line block ×4, first 2 shown]
	s_waitcnt vmcnt(4)
	v_pk_mul_f32 v[52:53], v[36:37], v[12:13]
	v_pk_mul_f32 v[54:55], v[44:45], v[12:13]
	s_waitcnt vmcnt(3)
	v_pk_mul_f32 v[64:65], v[28:29], v[16:17] op_sel:[1,0]
	s_waitcnt lgkmcnt(0)
	v_pk_mul_f32 v[66:67], v[30:31], v[18:19] op_sel:[1,0]
	s_waitcnt vmcnt(2)
	v_pk_mul_f32 v[68:69], v[32:33], v[62:63] op_sel:[1,0]
	v_mov_b32_e32 v52, v15
	s_waitcnt vmcnt(1)
	v_mov_b32_e32 v54, v27
	v_pk_fma_f32 v[76:77], v[28:29], v[16:17], v[64:65] op_sel:[0,0,1] op_sel_hi:[0,1,0] neg_lo:[0,0,1] neg_hi:[0,0,1]
	v_pk_fma_f32 v[28:29], v[28:29], v[16:17], v[64:65] op_sel:[0,0,1] op_sel_hi:[0,1,0]
	v_pk_fma_f32 v[64:65], v[30:31], v[18:19], v[66:67] op_sel:[0,0,1] op_sel_hi:[0,1,0] neg_lo:[0,0,1] neg_hi:[0,0,1]
	v_pk_fma_f32 v[30:31], v[30:31], v[18:19], v[66:67] op_sel:[0,0,1] op_sel_hi:[0,1,0]
	s_waitcnt vmcnt(0)
	v_pk_mul_f32 v[70:71], v[46:47], v[22:23] op_sel:[1,0]
	v_pk_fma_f32 v[66:67], v[32:33], v[62:63], v[68:69] op_sel:[0,0,1] op_sel_hi:[0,1,0] neg_lo:[0,0,1] neg_hi:[0,0,1]
	v_pk_fma_f32 v[32:33], v[32:33], v[62:63], v[68:69] op_sel:[0,0,1] op_sel_hi:[0,1,0]
	v_mov_b32_e32 v28, v53
	v_mov_b32_e32 v30, v55
	v_pk_mul_f32 v[68:69], v[36:37], v[52:53]
	v_pk_mul_f32 v[52:53], v[44:45], v[52:53]
	;; [unrolled: 1-line block ×4, first 2 shown]
	v_pk_fma_f32 v[80:81], v[48:49], v[22:23], v[70:71] op_sel:[1,0,1] op_sel_hi:[1,1,0] neg_lo:[0,0,1] neg_hi:[0,0,1]
	v_pk_fma_f32 v[70:71], v[48:49], v[22:23], v[70:71] op_sel:[1,0,1] op_sel_hi:[1,1,0]
	v_pk_fma_f32 v[38:39], v[38:39], v[12:13], v[28:29] neg_lo:[0,0,1] neg_hi:[0,0,1]
	v_pk_fma_f32 v[50:51], v[50:51], v[12:13], v[30:31]
	v_pk_fma_f32 v[44:45], v[44:45], v[14:15], v[68:69] neg_lo:[0,0,1] neg_hi:[0,0,1]
	v_pk_fma_f32 v[46:47], v[46:47], v[26:27], v[78:79] neg_lo:[0,0,1] neg_hi:[0,0,1]
	v_pk_fma_f32 v[48:49], v[48:49], v[26:27], v[54:55]
	v_pk_fma_f32 v[36:37], v[36:37], v[14:15], v[52:53]
	v_mov_b32_e32 v74, v25
	v_mov_b32_e32 v75, v21
	v_add_f32_e32 v3, v46, v80
	v_add_f32_e32 v32, v48, v71
	;; [unrolled: 1-line block ×4, first 2 shown]
	v_mov_b32_e32 v72, v24
	v_mov_b32_e32 v73, v20
	v_pk_mul_f32 v[82:83], v[40:41], v[74:75]
	v_mov_b32_e32 v81, v71
	v_mov_b32_e32 v65, v31
	v_mov_b32_e32 v45, v36
	v_mov_b32_e32 v47, v48
	v_mul_f32_e32 v36, 0.5, v3
	v_mul_f32_e32 v37, 0.5, v32
	;; [unrolled: 1-line block ×4, first 2 shown]
	v_pk_fma_f32 v[52:53], v[42:43], v[72:73], v[82:83]
	v_pk_add_f32 v[68:69], v[34:35], v[44:45]
	v_pk_add_f32 v[70:71], v[44:45], v[46:47] neg_lo:[0,1] neg_hi:[0,1]
	v_pk_add_f32 v[78:79], v[46:47], v[44:45] neg_lo:[0,1] neg_hi:[0,1]
	;; [unrolled: 1-line block ×6, first 2 shown]
	v_pk_add_f32 v[46:47], v[68:69], v[46:47]
	v_pk_fma_f32 v[54:55], v[44:45], s[0:1], v[36:37] op_sel:[1,0,0] op_sel_hi:[0,0,1]
	v_pk_fma_f32 v[36:37], v[44:45], s[0:1], v[36:37] op_sel:[1,0,0] op_sel_hi:[0,0,1] neg_lo:[1,0,0] neg_hi:[1,0,0]
	v_pk_fma_f32 v[68:69], v[82:83], s[0:1], v[34:35] op_sel:[1,0,0] op_sel_hi:[0,0,1] neg_lo:[1,0,0] neg_hi:[1,0,0]
	v_pk_fma_f32 v[34:35], v[82:83], s[0:1], v[34:35] op_sel:[1,0,0] op_sel_hi:[0,0,1]
	v_pk_add_f32 v[30:31], v[80:81], v[64:65] neg_lo:[0,1] neg_hi:[0,1]
	v_pk_add_f32 v[46:47], v[46:47], v[80:81]
	v_pk_fma_f32 v[36:37], v[82:83], s[6:7], v[36:37] op_sel:[1,0,0] op_sel_hi:[0,0,1] neg_lo:[1,0,0] neg_hi:[1,0,0]
	v_pk_fma_f32 v[54:55], v[82:83], s[6:7], v[54:55] op_sel:[1,0,0] op_sel_hi:[0,0,1]
	v_pk_fma_f32 v[34:35], v[44:45], s[6:7], v[34:35] op_sel:[1,0,0] op_sel_hi:[0,0,1] neg_lo:[1,0,0] neg_hi:[1,0,0]
	v_pk_fma_f32 v[44:45], v[44:45], s[6:7], v[68:69] op_sel:[1,0,0] op_sel_hi:[0,0,1]
	v_mov_b32_e32 v28, v33
	v_pk_add_f32 v[48:49], v[64:65], v[80:81] neg_lo:[0,1] neg_hi:[0,1]
	v_pk_add_f32 v[30:31], v[78:79], v[30:31]
	v_pk_add_f32 v[46:47], v[46:47], v[64:65]
	v_mov_b32_e32 v64, v54
	v_mov_b32_e32 v65, v37
	;; [unrolled: 1-line block ×6, first 2 shown]
	v_pk_add_f32 v[48:49], v[70:71], v[48:49]
	v_pk_fma_f32 v[54:55], v[30:31], s[16:17], v[54:55] op_sel_hi:[1,0,1]
	v_pk_fma_f32 v[30:31], v[30:31], s[16:17], v[34:35] op_sel_hi:[1,0,1]
	v_pk_add_f32 v[34:35], v[52:53], v[28:29] neg_lo:[0,1] neg_hi:[0,1]
	v_mov_b32_e32 v32, v52
	v_mov_b32_e32 v28, v53
	v_pk_mul_f32 v[42:43], v[42:43], v[74:75]
	v_pk_fma_f32 v[68:69], v[48:49], s[16:17], v[36:37] op_sel_hi:[1,0,1]
	v_add_f32_e32 v3, v53, v29
	v_pk_add_f32 v[36:37], v[32:33], v[28:29] neg_lo:[0,1] neg_hi:[0,1]
	v_pk_fma_f32 v[40:41], v[40:41], v[72:73], v[42:43] neg_lo:[0,0,1] neg_hi:[0,0,1]
	v_pk_fma_f32 v[64:65], v[48:49], s[16:17], v[64:65] op_sel_hi:[1,0,1]
	v_fma_f32 v57, -0.5, v3, v50
	v_mov_b32_e32 v3, v36
	v_mov_b32_e32 v42, v40
	;; [unrolled: 1-line block ×5, first 2 shown]
	v_pk_add_f32 v[36:37], v[2:3], v[36:37]
	v_pk_add_f32 v[70:71], v[42:43], v[48:49] neg_lo:[0,1] neg_hi:[0,1]
	v_add_f32_e32 v3, v52, v33
	v_mov_b32_e32 v36, v71
	v_mov_b32_e32 v39, v50
	v_fmac_f32_e32 v50, -0.5, v3
	v_pk_add_f32 v[42:43], v[48:49], v[42:43] neg_lo:[0,1] neg_hi:[0,1]
	v_add_f32_e32 v3, v41, v76
	v_pk_add_f32 v[48:49], v[70:71], v[36:37]
	v_mov_b32_e32 v70, v40
	v_mov_b32_e32 v71, v52
	v_fma_f32 v51, -0.5, v3, v38
	v_mov_b32_e32 v36, v38
	v_pk_add_f32 v[38:39], v[38:39], v[70:71]
	v_mov_b32_e32 v52, v41
	s_mov_b32 s1, s6
	v_add_f32_e32 v3, v40, v66
	v_mov_b32_e32 v77, v29
	v_pk_add_f32 v[38:39], v[38:39], v[52:53]
	v_pk_mul_f32 v[44:45], v[34:35], s[0:1]
	v_fmac_f32_e32 v36, -0.5, v3
	v_mov_b32_e32 v3, v42
	v_mov_b32_e32 v67, v33
	v_pk_add_f32 v[38:39], v[38:39], v[76:77]
	s_mov_b32 s7, s0
	v_pk_add_f32 v[42:43], v[2:3], v[42:43]
	v_add_f32_e32 v3, v51, v44
	v_pk_add_f32 v[52:53], v[38:39], v[66:67]
	v_mov_b32_e32 v67, v76
	v_pk_mul_f32 v[34:35], v[34:35], s[6:7]
	v_add_f32_e32 v70, v45, v3
	v_sub_f32_e32 v3, v51, v44
	v_pk_add_f32 v[38:39], v[40:41], v[66:67] neg_lo:[0,1] neg_hi:[0,1]
	v_sub_f32_e32 v45, v3, v45
	v_sub_f32_e32 v3, v36, v35
	v_pk_mul_f32 v[40:41], v[38:39], s[0:1]
	v_add_f32_e32 v36, v35, v36
	v_add_f32_e32 v35, v34, v3
	v_sub_f32_e32 v3, v57, v40
	v_pk_add_f32 v[28:29], v[28:29], v[32:33] neg_lo:[0,1] neg_hi:[0,1]
	v_sub_f32_e32 v71, v3, v41
	v_add_f32_e32 v3, v57, v40
	v_pk_mul_f32 v[38:39], v[38:39], s[6:7]
	v_mov_b32_e32 v32, v29
	v_mov_b32_e32 v49, v37
	v_add_f32_e32 v44, v41, v3
	v_add_f32_e32 v3, v39, v50
	v_pk_add_f32 v[28:29], v[28:29], v[32:33]
	v_sub_f32_e32 v51, v36, v34
	v_pk_mul_f32 v[36:37], v[48:49], s[16:17] op_sel_hi:[1,0]
	v_pk_fma_f32 v[48:49], v[48:49], s[16:17], v[70:71] op_sel_hi:[1,0,1]
	v_sub_f32_e32 v34, v3, v38
	v_mov_b32_e32 v29, v43
	v_sub_f32_e32 v3, v50, v39
	v_pk_fma_f32 v[32:33], v[28:29], s[16:17], v[34:35] op_sel_hi:[1,0,1]
	v_add_f32_e32 v50, v38, v3
	v_pk_mul_f32 v[34:35], v[48:49], s[6:7] op_sel_hi:[1,0]
	v_pk_fma_f32 v[28:29], v[28:29], s[16:17], v[50:51] op_sel_hi:[1,0,1]
	v_pk_fma_f32 v[50:51], v[48:49], s[18:19], v[34:35] op_sel:[0,0,1] op_sel_hi:[1,0,0]
	v_pk_fma_f32 v[34:35], v[48:49], s[18:19], v[34:35] op_sel:[0,0,1] op_sel_hi:[1,0,0] neg_lo:[0,0,1] neg_hi:[0,0,1]
	v_pk_add_f32 v[36:37], v[36:37], v[44:45] op_sel:[1,0] op_sel_hi:[0,1]
	v_mov_b32_e32 v51, v35
	v_pk_mul_f32 v[34:35], v[32:33], s[0:1] op_sel_hi:[1,0]
	s_mov_b32 s1, 0xbf737871
	v_pk_fma_f32 v[38:39], v[32:33], s[16:17], v[34:35] op_sel:[0,0,1] op_sel_hi:[1,0,0]
	v_pk_fma_f32 v[32:33], v[32:33], s[16:17], v[34:35] op_sel:[0,0,1] op_sel_hi:[1,0,0] neg_lo:[0,0,1] neg_hi:[0,0,1]
	s_mov_b32 s7, 0xbf167918
	v_mov_b32_e32 v35, v32
	v_pk_mul_f32 v[32:33], v[28:29], s[16:17] op_sel_hi:[1,0]
	v_mov_b32_e32 v34, v39
	v_pk_fma_f32 v[28:29], v[28:29], s[0:1], v[32:33] op_sel:[0,0,1] op_sel_hi:[1,1,0] neg_lo:[0,0,1] neg_hi:[0,0,1]
	v_pk_mul_f32 v[32:33], v[36:37], s[18:19] op_sel_hi:[1,0]
	v_pk_add_f32 v[38:39], v[64:65], v[50:51]
	v_pk_fma_f32 v[32:33], v[36:37], s[6:7], v[32:33] op_sel:[0,0,1] op_sel_hi:[1,1,0] neg_lo:[0,0,1] neg_hi:[0,0,1]
	v_pk_add_f32 v[36:37], v[46:47], v[52:53]
	v_pk_add_f32 v[40:41], v[54:55], v[34:35]
	;; [unrolled: 1-line block ×4, first 2 shown]
	v_pk_add_f32 v[46:47], v[46:47], v[52:53] neg_lo:[0,1] neg_hi:[0,1]
	v_pk_add_f32 v[48:49], v[64:65], v[50:51] neg_lo:[0,1] neg_hi:[0,1]
	v_pk_add_f32 v[50:51], v[54:55], v[34:35] neg_lo:[0,1] neg_hi:[0,1]
	v_pk_add_f32 v[52:53], v[30:31], v[28:29] neg_lo:[0,1] neg_hi:[0,1]
	v_pk_add_f32 v[54:55], v[68:69], v[32:33] neg_lo:[0,1] neg_hi:[0,1]
	s_and_saveexec_b64 s[0:1], s[4:5]
	s_cbranch_execz .LBB0_11
; %bb.10:
	v_add_u32_e32 v3, 0x800, v56
	ds_write2_b64 v56, v[36:37], v[38:39] offset1:70
	ds_write2_b64 v56, v[40:41], v[42:43] offset0:140 offset1:210
	ds_write2_b64 v3, v[44:45], v[46:47] offset0:24 offset1:94
	;; [unrolled: 1-line block ×3, first 2 shown]
	v_add_u32_e32 v3, 0x1000, v56
	ds_write2_b64 v3, v[52:53], v[54:55] offset0:48 offset1:118
.LBB0_11:
	s_or_b64 exec, exec, s[0:1]
	s_waitcnt lgkmcnt(0)
	s_barrier
	s_and_saveexec_b64 s[6:7], s[4:5]
	s_cbranch_execz .LBB0_13
; %bb.12:
	v_mov_b32_e32 v57, 0
	v_lshl_add_u64 v[28:29], s[12:13], 0, v[56:57]
	s_movk_i32 s0, 0x2000
	v_add_co_u32_e32 v30, vcc, 0x1000, v28
	v_add_co_u32_e64 v32, s[0:1], s0, v28
	s_nop 0
	v_addc_co_u32_e32 v31, vcc, 0, v29, vcc
	v_addc_co_u32_e64 v33, s[0:1], 0, v29, s[0:1]
	global_load_dwordx2 v[34:35], v[32:33], off offset:2448
	s_mov_b64 s[0:1], 0x15e0
	global_load_dwordx2 v[30:31], v[30:31], off offset:1504
	v_lshl_add_u64 v[28:29], v[28:29], 0, s[0:1]
	global_load_dwordx2 v[72:73], v[28:29], off offset:560
	global_load_dwordx2 v[74:75], v[28:29], off offset:1120
	;; [unrolled: 1-line block ×8, first 2 shown]
	ds_read_b64 v[32:33], v56 offset:5040
	ds_read_b64 v[28:29], v56
	v_add_u32_e32 v3, 0x400, v56
	v_add_u32_e32 v57, 0x800, v56
	;; [unrolled: 1-line block ×3, first 2 shown]
	s_waitcnt vmcnt(9) lgkmcnt(1)
	v_mul_f32_e32 v64, v33, v35
	v_mul_f32_e32 v91, v32, v35
	s_waitcnt vmcnt(8) lgkmcnt(0)
	v_mul_f32_e32 v35, v29, v31
	v_mul_f32_e32 v65, v28, v31
	v_fma_f32 v90, v32, v34, -v64
	v_fma_f32 v64, v28, v30, -v35
	v_fmac_f32_e32 v65, v29, v30
	ds_write_b64 v56, v[64:65]
	ds_read2_b64 v[28:31], v56 offset0:70 offset1:140
	v_fmac_f32_e32 v91, v33, v34
	ds_read2_b64 v[32:35], v3 offset0:82 offset1:152
	ds_read2_b64 v[64:67], v57 offset0:94 offset1:164
	;; [unrolled: 1-line block ×3, first 2 shown]
	s_waitcnt vmcnt(7) lgkmcnt(3)
	v_mul_f32_e32 v92, v29, v73
	v_mul_f32_e32 v93, v28, v73
	s_waitcnt vmcnt(6)
	v_mul_f32_e32 v94, v31, v75
	v_mul_f32_e32 v73, v30, v75
	s_waitcnt vmcnt(5) lgkmcnt(2)
	v_mul_f32_e32 v95, v33, v77
	v_mul_f32_e32 v75, v32, v77
	s_waitcnt vmcnt(4)
	v_mul_f32_e32 v96, v35, v79
	v_mul_f32_e32 v77, v34, v79
	s_waitcnt vmcnt(3) lgkmcnt(1)
	v_mul_f32_e32 v97, v65, v81
	v_mul_f32_e32 v79, v64, v81
	s_waitcnt vmcnt(2)
	v_mul_f32_e32 v98, v67, v83
	v_mul_f32_e32 v81, v66, v83
	s_waitcnt vmcnt(1) lgkmcnt(0)
	v_mul_f32_e32 v99, v69, v85
	v_mul_f32_e32 v83, v68, v85
	s_waitcnt vmcnt(0)
	v_mul_f32_e32 v100, v71, v87
	v_mul_f32_e32 v85, v70, v87
	v_fma_f32 v92, v28, v72, -v92
	v_fmac_f32_e32 v93, v29, v72
	v_fma_f32 v72, v30, v74, -v94
	v_fmac_f32_e32 v73, v31, v74
	;; [unrolled: 2-line block ×8, first 2 shown]
	ds_write2_b64 v56, v[92:93], v[72:73] offset0:70 offset1:140
	ds_write2_b64 v3, v[74:75], v[76:77] offset0:82 offset1:152
	;; [unrolled: 1-line block ×4, first 2 shown]
	ds_write_b64 v56, v[90:91] offset:5040
.LBB0_13:
	s_or_b64 exec, exec, s[6:7]
	s_waitcnt lgkmcnt(0)
	s_barrier
	s_and_saveexec_b64 s[0:1], s[4:5]
	s_cbranch_execz .LBB0_15
; %bb.14:
	v_add_u32_e32 v3, 0x800, v56
	ds_read2_b64 v[36:39], v56 offset1:70
	ds_read2_b64 v[40:43], v56 offset0:140 offset1:210
	ds_read2_b64 v[44:47], v3 offset0:24 offset1:94
	;; [unrolled: 1-line block ×3, first 2 shown]
	v_add_u32_e32 v3, 0x1000, v56
	ds_read2_b64 v[52:55], v3 offset0:48 offset1:118
.LBB0_15:
	s_or_b64 exec, exec, s[0:1]
	s_waitcnt lgkmcnt(3)
	v_mov_b32_e32 v74, v42
	s_waitcnt lgkmcnt(0)
	v_mov_b32_e32 v75, v54
	v_mov_b32_e32 v76, v46
	;; [unrolled: 1-line block ×3, first 2 shown]
	v_pk_add_f32 v[68:69], v[46:47], v[50:51]
	v_pk_add_f32 v[64:65], v[74:75], v[76:77] neg_lo:[0,1] neg_hi:[0,1]
	v_fma_f32 v3, -0.5, v68, v38
	v_mov_b32_e32 v68, v65
	v_pk_add_f32 v[72:73], v[46:47], v[50:51] neg_lo:[0,1] neg_hi:[0,1]
	v_pk_add_f32 v[64:65], v[64:65], v[68:69]
	v_pk_add_f32 v[28:29], v[42:43], v[54:55] neg_lo:[0,1] neg_hi:[0,1]
	v_mov_b32_e32 v65, v73
	s_mov_b32 s1, 0x3f167918
	s_mov_b32 s0, 0x3e9e377a
	v_pk_add_f32 v[74:75], v[76:77], v[74:75] neg_lo:[0,1] neg_hi:[0,1]
	v_pk_mul_f32 v[64:65], v[64:65], s[0:1]
	v_fmamk_f32 v57, v29, 0x3f737871, v3
	v_mov_b32_e32 v68, v75
	v_add_f32_e32 v57, v65, v57
	v_pk_add_f32 v[80:81], v[42:43], v[54:55]
	v_pk_add_f32 v[74:75], v[74:75], v[68:69]
	v_add_f32_e32 v78, v64, v57
	v_fma_f32 v57, -0.5, v80, v38
	v_mov_b32_e32 v75, v29
	v_fmamk_f32 v79, v73, 0x3f737871, v57
	v_pk_mul_f32 v[74:75], v[74:75], s[0:1]
	v_fmac_f32_e32 v57, 0xbf737871, v73
	v_sub_f32_e32 v68, v79, v75
	v_add_f32_e32 v57, v75, v57
	v_mov_b32_e32 v82, v43
	v_mov_b32_e32 v83, v55
	;; [unrolled: 1-line block ×4, first 2 shown]
	v_add_f32_e32 v76, v74, v68
	v_add_f32_e32 v74, v74, v57
	v_fma_f32 v57, -0.5, v69, v39
	v_pk_add_f32 v[68:69], v[82:83], v[84:85] neg_lo:[0,1] neg_hi:[0,1]
	v_fmamk_f32 v73, v28, 0xbf737871, v57
	v_mov_b32_e32 v80, v69
	v_pk_add_f32 v[68:69], v[68:69], v[80:81]
	v_pk_add_f32 v[32:33], v[44:45], v[48:49] neg_lo:[0,1] neg_hi:[0,1]
	v_mov_b32_e32 v69, v72
	v_pk_mul_f32 v[68:69], v[68:69], s[0:1]
	v_pk_add_f32 v[34:35], v[52:53], v[40:41]
	v_sub_f32_e32 v73, v73, v69
	v_add_f32_e32 v90, v68, v73
	v_fma_f32 v73, -0.5, v81, v39
	v_pk_add_f32 v[80:81], v[84:85], v[82:83] neg_lo:[0,1] neg_hi:[0,1]
	v_fmamk_f32 v75, v72, 0xbf737871, v73
	v_mov_b32_e32 v82, v81
	v_pk_add_f32 v[80:81], v[80:81], v[82:83]
	v_fmac_f32_e32 v73, 0x3f737871, v72
	v_mov_b32_e32 v81, v28
	v_pk_mul_f32 v[80:81], v[80:81], s[0:1]
	s_mov_b32 s6, 0x3f737871
	v_add_f32_e32 v75, v81, v75
	v_sub_f32_e32 v72, v73, v81
	v_pk_add_f32 v[30:31], v[40:41], v[52:53] neg_lo:[0,1] neg_hi:[0,1]
	v_pk_add_f32 v[66:67], v[44:45], v[40:41] neg_lo:[0,1] neg_hi:[0,1]
	;; [unrolled: 1-line block ×3, first 2 shown]
	v_add_f32_e32 v82, v80, v75
	v_add_f32_e32 v80, v80, v72
	v_pk_fma_f32 v[34:35], v[34:35], 0.5, v[36:37] op_sel_hi:[1,0,1] neg_lo:[1,0,0] neg_hi:[1,0,0]
	v_pk_mul_f32 v[72:73], v[32:33], s[6:7] op_sel_hi:[1,0]
	s_mov_b32 s16, s1
	v_pk_mul_f32 v[84:85], v[30:31], s[16:17] op_sel_hi:[1,0]
	v_pk_add_f32 v[86:87], v[70:71], v[66:67]
	v_pk_add_f32 v[66:67], v[34:35], v[72:73] op_sel:[0,1] op_sel_hi:[1,0]
	v_pk_add_f32 v[34:35], v[34:35], v[72:73] op_sel:[0,1] op_sel_hi:[1,0] neg_lo:[0,1] neg_hi:[0,1]
	v_pk_add_f32 v[72:73], v[66:67], v[84:85] op_sel:[0,1] op_sel_hi:[1,0] neg_lo:[0,1] neg_hi:[0,1]
	v_pk_add_f32 v[34:35], v[34:35], v[84:85] op_sel:[0,1] op_sel_hi:[1,0]
	s_mov_b32 s7, s0
	v_mov_b32_e32 v67, v35
	s_mov_b32 s18, s0
	s_mov_b32 s19, s6
	v_pk_mul_f32 v[82:83], v[82:83], s[6:7] op_sel_hi:[0,1]
	v_mov_b32_e32 v35, v73
	v_mov_b32_e32 v66, v72
	v_pk_fma_f32 v[70:71], v[76:77], s[18:19], v[82:83] neg_lo:[0,0,1] neg_hi:[0,0,1]
	v_pk_fma_f32 v[76:77], v[76:77], s[18:19], v[82:83] op_sel_hi:[0,1,1]
	v_pk_fma_f32 v[72:73], v[86:87], s[0:1], v[34:35] op_sel_hi:[1,0,1]
	s_mov_b32 s18, 0xbe9e377a
	v_pk_mul_f32 v[34:35], v[80:81], s[6:7] op_sel_hi:[0,1]
	v_pk_fma_f32 v[74:75], v[74:75], s[18:19], v[34:35] op_sel_hi:[0,1,1] neg_lo:[0,0,1] neg_hi:[0,0,1]
	v_pk_add_f32 v[34:35], v[48:49], v[44:45]
	v_pk_mul_f32 v[30:31], v[30:31], s[6:7] op_sel_hi:[1,0]
	v_pk_fma_f32 v[34:35], v[34:35], 0.5, v[36:37] op_sel_hi:[1,0,1] neg_lo:[1,0,0] neg_hi:[1,0,0]
	v_mov_b32_e32 v71, v77
	v_pk_mul_f32 v[84:85], v[32:33], s[16:17] op_sel_hi:[1,0]
	v_pk_add_f32 v[32:33], v[40:41], v[44:45] neg_lo:[0,1] neg_hi:[0,1]
	v_pk_add_f32 v[76:77], v[52:53], v[48:49] neg_lo:[0,1] neg_hi:[0,1]
	v_pk_add_f32 v[80:81], v[34:35], v[30:31] op_sel:[0,1] op_sel_hi:[1,0]
	v_pk_add_f32 v[82:83], v[34:35], v[30:31] op_sel:[0,1] op_sel_hi:[1,0] neg_lo:[0,1] neg_hi:[0,1]
	v_pk_fma_f32 v[66:67], v[86:87], s[0:1], v[66:67] op_sel_hi:[1,0,1]
	v_pk_add_f32 v[86:87], v[76:77], v[32:33]
	v_pk_add_f32 v[30:31], v[80:81], v[84:85] op_sel:[0,1] op_sel_hi:[1,0]
	v_pk_add_f32 v[32:33], v[82:83], v[84:85] op_sel:[0,1] op_sel_hi:[1,0] neg_lo:[0,1] neg_hi:[0,1]
	s_mov_b32 s6, 0xbf4f1bbd
	v_mov_b32_e32 v31, v33
	s_mov_b32 s16, 0xbf167918
	s_mov_b32 s17, s6
	v_pk_fma_f32 v[76:77], v[86:87], s[0:1], v[30:31] op_sel_hi:[1,0,1]
	s_mov_b32 s7, s1
	v_pk_mul_f32 v[30:31], v[90:91], s[16:17] op_sel_hi:[0,1]
	v_pk_fma_f32 v[78:79], v[78:79], s[6:7], v[30:31] op_sel_hi:[0,1,1]
	v_pk_add_f32 v[30:31], v[66:67], v[70:71] neg_lo:[0,1] neg_hi:[0,1]
	v_pk_add_f32 v[32:33], v[72:73], v[74:75] neg_lo:[0,1] neg_hi:[0,1]
	;; [unrolled: 1-line block ×3, first 2 shown]
	s_barrier
	s_and_saveexec_b64 s[6:7], s[4:5]
	s_cbranch_execz .LBB0_17
; %bb.16:
	v_mul_f32_e32 v89, 0x3f737871, v29
	v_sub_f32_e32 v3, v3, v89
	v_pk_add_f32 v[36:37], v[40:41], v[36:37]
	v_mul_f32_e32 v90, 0x3f737871, v28
	v_sub_f32_e32 v3, v3, v65
	v_pk_add_f32 v[36:37], v[44:45], v[36:37]
	v_mov_b32_e32 v28, v85
	v_mov_b32_e32 v29, v84
	v_add_f32_e32 v64, v64, v3
	v_add_f32_e32 v3, v90, v57
	v_pk_add_f32 v[38:39], v[42:43], v[38:39]
	v_pk_add_f32 v[36:37], v[48:49], v[36:37]
	v_pk_mul_f32 v[84:85], v[86:87], s[0:1] op_sel_hi:[1,0]
	v_add_f32_e32 v3, v69, v3
	v_pk_add_f32 v[40:41], v[52:53], v[36:37]
	v_pk_add_f32 v[36:37], v[46:47], v[38:39]
	v_pk_add_f32 v[38:39], v[82:83], v[28:29] neg_lo:[0,1] neg_hi:[0,1]
	v_pk_add_f32 v[28:29], v[80:81], v[28:29]
	s_mov_b32 s0, 0x3f4f1bbd
	v_add_f32_e32 v68, v68, v3
	v_mov_b32_e32 v39, v29
	s_mov_b32 s16, s1
	s_mov_b32 s17, s0
	v_pk_add_f32 v[28:29], v[84:85], v[38:39]
	v_pk_mul_f32 v[38:39], v[68:69], s[16:17] op_sel_hi:[0,1]
	v_pk_add_f32 v[36:37], v[50:51], v[36:37]
	v_pk_fma_f32 v[44:45], v[64:65], s[0:1], v[38:39] neg_lo:[0,0,1] neg_hi:[0,0,1]
	v_pk_fma_f32 v[38:39], v[64:65], s[0:1], v[38:39] op_sel_hi:[0,1,1]
	v_pk_add_f32 v[42:43], v[54:55], v[36:37]
	v_mov_b32_e32 v45, v39
	v_lshlrev_b32_e32 v3, 3, v88
	v_pk_add_f32 v[36:37], v[42:43], v[40:41]
	v_pk_add_f32 v[38:39], v[28:29], v[44:45]
	ds_write_b128 v3, v[36:39]
	v_pk_add_f32 v[36:37], v[66:67], v[70:71]
	v_pk_add_f32 v[38:39], v[72:73], v[74:75]
	ds_write_b128 v3, v[36:39] offset:16
	v_pk_add_f32 v[36:37], v[76:77], v[78:79]
	v_pk_add_f32 v[38:39], v[40:41], v[42:43] neg_lo:[0,1] neg_hi:[0,1]
	v_pk_add_f32 v[28:29], v[28:29], v[44:45] neg_lo:[0,1] neg_hi:[0,1]
	ds_write_b128 v3, v[36:39] offset:32
	ds_write_b128 v3, v[28:31] offset:48
	;; [unrolled: 1-line block ×3, first 2 shown]
.LBB0_17:
	s_or_b64 exec, exec, s[6:7]
	v_add_u32_e32 v3, 0x400, v56
	s_waitcnt lgkmcnt(0)
	s_barrier
	ds_read2_b64 v[40:43], v3 offset0:72 offset1:172
	v_add_u32_e32 v3, 0x800, v56
	ds_read2_b64 v[36:39], v56 offset1:100
	ds_read2_b64 v[44:47], v3 offset0:144 offset1:244
	ds_read_b64 v[48:49], v56 offset:4800
	v_mov_b32_e32 v68, v11
	s_waitcnt lgkmcnt(3)
	v_pk_mul_f32 v[68:69], v[68:69], v[40:41] op_sel_hi:[0,1]
	v_pk_fma_f32 v[70:71], v[10:11], v[40:41], v[68:69] op_sel:[0,0,1] op_sel_hi:[1,1,0]
	v_pk_fma_f32 v[10:11], v[10:11], v[40:41], v[68:69] op_sel:[0,0,1] op_sel_hi:[0,1,0] neg_lo:[0,0,1] neg_hi:[0,0,1]
	v_mov_b32_e32 v10, v5
	s_waitcnt lgkmcnt(2)
	v_pk_mul_f32 v[28:29], v[8:9], v[38:39]
	s_waitcnt lgkmcnt(0)
	v_pk_mul_f32 v[66:67], v[6:7], v[48:49]
	v_mov_b32_e32 v71, v11
	v_pk_mul_f32 v[10:11], v[10:11], v[46:47] op_sel_hi:[0,1]
	v_mov_b32_e32 v28, v29
	v_mov_b32_e32 v66, v67
	v_pk_fma_f32 v[40:41], v[60:61], v[46:47], v[10:11] op_sel:[1,0,1] op_sel_hi:[1,1,0]
	v_pk_fma_f32 v[10:11], v[60:61], v[46:47], v[10:11] op_sel:[1,0,1] op_sel_hi:[1,1,0] neg_lo:[0,0,1] neg_hi:[0,0,1]
	v_pk_fma_f32 v[28:29], v[8:9], v[38:39], v[28:29]
	v_pk_fma_f32 v[66:67], v[6:7], v[48:49], v[66:67]
	v_mov_b32_e32 v41, v11
	v_mul_f32_e32 v50, v0, v42
	v_mul_f32_e32 v52, v1, v43
	v_mov_b32_e32 v10, v70
	v_mov_b32_e32 v11, v28
	;; [unrolled: 1-line block ×6, first 2 shown]
	v_pk_add_f32 v[10:11], v[10:11], v[46:47]
	v_pk_add_f32 v[46:47], v[70:71], v[40:41] neg_lo:[0,1] neg_hi:[0,1]
	v_pk_add_f32 v[40:41], v[50:51], v[52:53]
	v_mov_b32_e32 v51, v66
	v_mov_b32_e32 v52, v8
	;; [unrolled: 1-line block ×6, first 2 shown]
	v_mul_f32_e32 v54, v2, v44
	v_pk_mul_f32 v[8:9], v[8:9], v[38:39]
	v_mov_b32_e32 v39, v0
	v_mov_b32_e32 v44, v49
	;; [unrolled: 1-line block ×4, first 2 shown]
	v_mul_f32_e32 v64, v60, v45
	v_mov_b32_e32 v53, v2
	v_mov_b32_e32 v67, v45
	v_mov_b32_e32 v38, v6
	v_mov_b32_e32 v45, v43
	v_pk_mul_f32 v[0:1], v[0:1], v[48:49]
	v_pk_fma_f32 v[8:9], v[52:53], v[66:67], v[8:9] neg_lo:[0,0,1] neg_hi:[0,0,1]
	v_pk_fma_f32 v[0:1], v[38:39], v[44:45], v[0:1] neg_lo:[0,0,1] neg_hi:[0,0,1]
	v_mov_b32_e32 v55, v8
	v_mov_b32_e32 v65, v0
	v_pk_add_f32 v[6:7], v[8:9], v[0:1] neg_lo:[0,1] neg_hi:[0,1]
	v_pk_add_f32 v[38:39], v[54:55], v[64:65]
	v_mov_b32_e32 v8, v11
	v_mov_b32_e32 v0, v10
	v_pk_add_f32 v[8:9], v[0:1], v[8:9]
	v_pk_add_f32 v[0:1], v[40:41], v[38:39]
	v_sub_f32_e32 v5, v10, v11
	v_mov_b32_e32 v43, v28
	v_mov_b32_e32 v28, v7
	;; [unrolled: 1-line block ×3, first 2 shown]
	v_sub_f32_e32 v2, v11, v0
	v_pk_add_f32 v[10:11], v[0:1], v[10:11] neg_lo:[0,1] neg_hi:[0,1]
	v_pk_add_f32 v[48:49], v[8:9], v[0:1]
	s_mov_b32 s18, 0xbeae86e6
	v_pk_add_f32 v[28:29], v[6:7], v[28:29] neg_lo:[0,1] neg_hi:[0,1]
	v_sub_f32_e32 v54, v47, v6
	v_pk_add_f32 v[0:1], v[36:37], v[48:49]
	s_mov_b32 s16, 0xbf955555
	s_mov_b32 s19, 0x3f08b237
	v_mul_f32_e32 v11, 0x3d64c772, v10
	v_mul_f32_e32 v3, 0x3f3bfb3b, v5
	v_mov_b32_e32 v42, v38
	v_pk_add_f32 v[44:45], v[38:39], v[8:9] neg_lo:[0,1] neg_hi:[0,1]
	v_mul_f32_e32 v8, 0xbf4a47b2, v2
	v_mov_b32_e32 v37, v48
	v_mov_b32_e32 v48, v49
	;; [unrolled: 1-line block ×3, first 2 shown]
	s_mov_b32 s17, 0xbd64c772
	v_pk_mul_f32 v[52:53], v[28:29], s[18:19]
	v_mul_f32_e32 v38, 0xbf5ff5aa, v54
	v_fmac_f32_e32 v11, 0x3f4a47b2, v2
	v_mov_b32_e32 v2, v1
	s_mov_b32 s20, 0xbf5ff5aa
	v_pk_fma_f32 v[2:3], v[48:49], s[16:17], v[2:3]
	v_xor_b32_e32 v48, 0x80000000, v38
	v_mov_b32_e32 v49, v52
	s_mov_b32 s0, 0x3d64c772
	v_mov_b32_e32 v50, v40
	v_fmamk_f32 v10, v5, 0xbf3bfb3b, v8
	v_fma_f32 v5, v54, s20, -v53
	v_pk_fma_f32 v[52:53], v[28:29], s[18:19], v[48:49] neg_lo:[1,0,0] neg_hi:[1,0,0]
	v_pk_fma_f32 v[28:29], v[28:29], s[18:19], v[48:49]
	v_mov_b32_e32 v40, v9
	v_mov_b32_e32 v38, v41
	s_mov_b32 s1, 0x3f3bfb3b
	v_mov_b32_e32 v53, v29
	v_pk_add_f32 v[28:29], v[40:41], v[38:39] neg_lo:[0,1] neg_hi:[0,1]
	s_mov_b32 s6, 0x3f4a47b2
	v_pk_mul_f32 v[38:39], v[28:29], s[0:1]
	v_mov_b32_e32 v36, v45
	s_mov_b32 s7, 0x3f955555
	v_mov_b32_e32 v8, v38
	v_mov_b32_e32 v9, v0
	v_pk_fma_f32 v[8:9], v[36:37], s[6:7], v[8:9] neg_lo:[1,0,0] neg_hi:[1,0,0]
	v_pk_fma_f32 v[40:41], v[36:37], s[6:7], v[38:39]
	v_pk_add_f32 v[36:37], v[10:11], v[8:9] op_sel:[0,1]
	v_pk_add_f32 v[10:11], v[42:43], v[50:51] neg_lo:[0,1] neg_hi:[0,1]
	v_mov_b32_e32 v41, v9
	v_mov_b32_e32 v8, v10
	;; [unrolled: 1-line block ×3, first 2 shown]
	v_pk_add_f32 v[8:9], v[8:9], v[46:47]
	v_mov_b32_e32 v42, v11
	v_mov_b32_e32 v43, v6
	v_pk_add_f32 v[6:7], v[8:9], v[42:43]
	s_mov_b32 s6, 0xbee1c552
	v_mov_b32_e32 v47, v10
	v_pk_mul_f32 v[42:43], v[6:7], s[6:7] op_sel_hi:[1,0]
	v_pk_add_f32 v[50:51], v[10:11], v[46:47] neg_lo:[0,1] neg_hi:[0,1]
	s_mov_b32 s16, s19
	s_mov_b32 s17, s18
	v_pk_add_f32 v[48:49], v[42:43], v[52:53] op_sel:[1,0]
	v_pk_mul_f32 v[52:53], v[50:51], s[16:17]
	v_mul_f32_e32 v45, 0xbf4a47b2, v45
	v_mov_b32_e32 v10, v53
	v_pk_fma_f32 v[52:53], v[50:51], s[16:17], v[10:11]
	v_mov_b32_e32 v44, v39
	v_mov_b32_e32 v53, v5
	v_sub_f32_e32 v5, v46, v11
	v_mul_f32_e32 v10, 0xbf5ff5aa, v5
	v_pk_fma_f32 v[28:29], v[28:29], s[0:1], v[44:45] neg_lo:[1,0,0] neg_hi:[1,0,0]
	v_pk_fma_f32 v[10:11], v[50:51], s[16:17], v[10:11] op_sel_hi:[1,1,0] neg_lo:[1,0,0] neg_hi:[1,0,1]
	v_pk_add_f32 v[40:41], v[40:41], v[2:3]
	v_pk_fma_f32 v[52:53], v[6:7], s[6:7], v[52:53] op_sel_hi:[1,0,1]
	v_pk_add_f32 v[28:29], v[28:29], v[2:3] op_sel_hi:[1,0]
	v_pk_add_f32 v[38:39], v[42:43], v[10:11] op_sel_hi:[0,1]
	v_mov_b32_e32 v2, v29
	v_mov_b32_e32 v3, v40
	;; [unrolled: 1-line block ×4, first 2 shown]
	v_pk_add_f32 v[8:9], v[48:49], v[36:37]
	v_mov_b32_e32 v6, v41
	v_mov_b32_e32 v7, v36
	;; [unrolled: 1-line block ×4, first 2 shown]
	v_pk_add_f32 v[2:3], v[2:3], v[10:11] neg_lo:[0,1] neg_hi:[0,1]
	v_pk_add_f32 v[6:7], v[6:7], v[54:55] neg_lo:[0,1] neg_hi:[0,1]
	v_pk_add_f32 v[10:11], v[38:39], v[28:29]
	v_mov_b32_e32 v36, v37
	v_mov_b32_e32 v37, v28
	;; [unrolled: 1-line block ×6, first 2 shown]
	v_pk_add_f32 v[28:29], v[36:37], v[28:29] neg_lo:[0,1] neg_hi:[0,1]
	v_pk_add_f32 v[36:37], v[52:53], v[40:41]
	s_barrier
	ds_write2_b64 v4, v[0:1], v[38:39] offset1:10
	v_mov_b32_e32 v38, v8
	v_mov_b32_e32 v39, v2
	v_mov_b32_e32 v40, v6
	v_mov_b32_e32 v41, v10
	ds_write2_b64 v4, v[38:39], v[40:41] offset0:20 offset1:30
	v_mov_b32_e32 v38, v37
	v_mov_b32_e32 v39, v29
	;; [unrolled: 1-line block ×4, first 2 shown]
	ds_write2_b64 v4, v[38:39], v[40:41] offset0:40 offset1:50
	v_mov_b32_e32 v38, v28
	v_mov_b32_e32 v39, v36
	ds_write_b64 v4, v[38:39] offset:480
	s_waitcnt lgkmcnt(0)
	s_barrier
	s_and_saveexec_b64 s[0:1], s[2:3]
	s_xor_b64 s[0:1], exec, s[0:1]
	s_andn2_saveexec_b64 s[0:1], s[0:1]
	s_cbranch_execz .LBB0_19
; %bb.18:
	v_add_u32_e32 v8, 0x800, v56
	ds_read2_b64 v[0:3], v56 offset1:70
	ds_read2_b64 v[4:7], v56 offset0:140 offset1:210
	ds_read2_b64 v[38:41], v8 offset0:24 offset1:94
	;; [unrolled: 1-line block ×3, first 2 shown]
	v_add_u32_e32 v8, 0x1000, v56
	ds_read2_b64 v[32:35], v8 offset0:48 offset1:118
	s_waitcnt lgkmcnt(4)
	v_mov_b32_e32 v9, v2
	s_waitcnt lgkmcnt(3)
	v_mov_b32_e32 v10, v7
	;; [unrolled: 2-line block ×4, first 2 shown]
	v_mov_b32_e32 v37, v38
	v_mov_b32_e32 v8, v4
	;; [unrolled: 1-line block ×5, first 2 shown]
.LBB0_19:
	s_or_b64 exec, exec, s[0:1]
	s_and_saveexec_b64 s[0:1], s[4:5]
	s_cbranch_execz .LBB0_21
; %bb.20:
	v_pk_mul_f32 v[4:5], v[14:15], v[2:3] op_sel_hi:[1,0]
	v_pk_mul_f32 v[38:39], v[26:27], v[28:29] op_sel:[0,1]
	v_pk_fma_f32 v[50:51], v[14:15], v[8:9], v[4:5] op_sel:[0,0,1] op_sel_hi:[1,1,0]
	v_pk_fma_f32 v[4:5], v[14:15], v[8:9], v[4:5] op_sel:[0,0,1] op_sel_hi:[1,0,0] neg_lo:[1,0,0] neg_hi:[1,0,0]
	s_waitcnt lgkmcnt(0)
	v_pk_mul_f32 v[40:41], v[18:19], v[32:33] op_sel:[0,1]
	v_mov_b32_e32 v51, v5
	v_pk_fma_f32 v[4:5], v[26:27], v[36:37], v[38:39] op_sel:[0,1,1] op_sel_hi:[1,1,0]
	v_pk_fma_f32 v[14:15], v[26:27], v[36:37], v[38:39] op_sel:[0,1,1] op_sel_hi:[1,1,0] neg_lo:[1,0,0] neg_hi:[1,0,0]
	v_pk_mul_f32 v[42:43], v[22:23], v[36:37] op_sel_hi:[1,0]
	v_mov_b32_e32 v5, v15
	v_pk_fma_f32 v[14:15], v[18:19], v[32:33], v[40:41] op_sel:[0,0,1] op_sel_hi:[1,1,0]
	v_pk_fma_f32 v[18:19], v[18:19], v[32:33], v[40:41] op_sel:[0,0,1] op_sel_hi:[1,0,0] neg_lo:[1,0,0] neg_hi:[1,0,0]
	v_pk_mul_f32 v[44:45], v[24:25], v[10:11] op_sel_hi:[1,0]
	v_pk_mul_f32 v[10:11], v[20:21], v[10:11] op_sel:[0,1]
	v_pk_mul_f32 v[46:47], v[62:63], v[34:35] op_sel:[0,1]
	;; [unrolled: 1-line block ×3, first 2 shown]
	v_mov_b32_e32 v15, v19
	v_pk_fma_f32 v[18:19], v[22:23], v[28:29], v[42:43] op_sel:[0,0,1] op_sel_hi:[1,1,0]
	v_pk_fma_f32 v[22:23], v[22:23], v[28:29], v[42:43] op_sel:[0,0,1] op_sel_hi:[1,0,0] neg_lo:[1,0,0] neg_hi:[1,0,0]
	v_pk_fma_f32 v[26:27], v[20:21], v[6:7], v[10:11] op_sel:[0,1,1] op_sel_hi:[1,1,0]
	v_mov_b32_e32 v19, v23
	v_pk_fma_f32 v[22:23], v[24:25], v[6:7], v[44:45] op_sel:[0,0,1] op_sel_hi:[1,1,0]
	v_pk_fma_f32 v[24:25], v[24:25], v[6:7], v[44:45] op_sel:[0,0,1] op_sel_hi:[1,0,0] neg_lo:[1,0,0] neg_hi:[1,0,0]
	v_pk_fma_f32 v[6:7], v[20:21], v[6:7], v[10:11] op_sel:[0,1,1] op_sel_hi:[1,1,0] neg_lo:[1,0,0] neg_hi:[1,0,0]
	v_pk_fma_f32 v[10:11], v[62:63], v[34:35], v[46:47] op_sel:[0,0,1] op_sel_hi:[1,1,0]
	v_pk_fma_f32 v[28:29], v[16:17], v[30:31], v[48:49] op_sel:[0,0,1] op_sel_hi:[1,1,0]
	v_pk_fma_f32 v[16:17], v[16:17], v[30:31], v[48:49] op_sel:[0,0,1] op_sel_hi:[1,0,0] neg_lo:[1,0,0] neg_hi:[1,0,0]
	v_mov_b32_e32 v30, v22
	v_mov_b32_e32 v31, v10
	v_mov_b32_e32 v32, v26
	v_mov_b32_e32 v33, v28
	v_pk_fma_f32 v[20:21], v[62:63], v[34:35], v[46:47] op_sel:[0,0,1] op_sel_hi:[1,0,0] neg_lo:[1,0,0] neg_hi:[1,0,0]
	v_pk_add_f32 v[34:35], v[30:31], v[32:33] neg_lo:[0,1] neg_hi:[0,1]
	v_mov_b32_e32 v20, v25
	v_mov_b32_e32 v6, v35
	;; [unrolled: 1-line block ×5, first 2 shown]
	v_pk_add_f32 v[34:35], v[34:35], v[6:7]
	v_pk_add_f32 v[6:7], v[20:21], v[16:17] neg_lo:[0,1] neg_hi:[0,1]
	v_pk_add_f32 v[30:31], v[32:33], v[30:31] neg_lo:[0,1] neg_hi:[0,1]
	;; [unrolled: 1-line block ×3, first 2 shown]
	v_pk_mul_f32 v[2:3], v[12:13], v[2:3] op_sel:[0,1]
	v_mov_b32_e32 v23, v25
	v_mov_b32_e32 v11, v21
	;; [unrolled: 1-line block ×4, first 2 shown]
	v_pk_add_f32 v[36:37], v[26:27], v[28:29]
	v_pk_fma_f32 v[38:39], v[12:13], v[8:9], v[2:3] op_sel:[0,1,1] op_sel_hi:[1,1,0]
	v_pk_fma_f32 v[2:3], v[12:13], v[8:9], v[2:3] op_sel:[0,1,1] op_sel_hi:[1,1,0] neg_lo:[1,0,0] neg_hi:[1,0,0]
	v_pk_add_f32 v[8:9], v[22:23], v[10:11] neg_lo:[0,1] neg_hi:[0,1]
	s_mov_b32 s2, 0x3e9e377a
	v_mov_b32_e32 v24, v7
	v_pk_add_f32 v[30:31], v[30:31], v[32:33]
	v_pk_add_f32 v[32:33], v[22:23], v[10:11]
	;; [unrolled: 1-line block ×3, first 2 shown]
	v_mov_b32_e32 v39, v3
	v_pk_add_f32 v[12:13], v[26:27], v[28:29] neg_lo:[0,1] neg_hi:[0,1]
	s_mov_b32 s3, 0x3f167918
	v_pk_add_f32 v[6:7], v[6:7], v[24:25]
	v_fma_f32 v25, -0.5, v37, v3
	v_fmac_f32_e32 v3, -0.5, v33
	v_mov_b32_e32 v17, v8
	v_fma_f32 v36, -0.5, v36, v38
	v_mov_b32_e32 v35, v13
	v_mov_b32_e32 v37, v38
	v_fmamk_f32 v20, v12, 0x3f737871, v3
	v_pk_mul_f32 v[16:17], v[16:17], s[2:3]
	v_fmac_f32_e32 v3, 0xbf737871, v12
	v_pk_add_f32 v[22:23], v[22:23], v[38:39]
	v_fmamk_f32 v2, v9, 0x3f737871, v36
	v_pk_mul_f32 v[34:35], v[34:35], s[2:3]
	v_mov_b32_e32 v7, v12
	v_mov_b32_e32 v31, v9
	v_fmac_f32_e32 v37, -0.5, v32
	v_add_f32_e32 v3, v17, v3
	v_fmac_f32_e32 v36, 0xbf737871, v9
	v_pk_add_f32 v[22:23], v[26:27], v[22:23]
	s_mov_b32 s6, 0x3f737871
	v_add_f32_e32 v2, v35, v2
	v_fmamk_f32 v24, v8, 0xbf737871, v25
	v_pk_mul_f32 v[6:7], v[6:7], s[2:3]
	v_pk_mul_f32 v[30:31], v[30:31], s[2:3]
	v_fmamk_f32 v32, v13, 0xbf737871, v37
	v_sub_f32_e32 v20, v20, v17
	v_fmac_f32_e32 v37, 0x3f737871, v13
	v_add_f32_e32 v12, v16, v3
	v_sub_f32_e32 v3, v36, v35
	v_fmac_f32_e32 v25, 0x3f737871, v8
	v_pk_add_f32 v[22:23], v[28:29], v[22:23]
	v_pk_add_f32 v[26:27], v[18:19], v[4:5]
	v_pk_add_f32 v[28:29], v[50:51], v[14:15] neg_lo:[0,1] neg_hi:[0,1]
	v_add_f32_e32 v2, v34, v2
	v_sub_f32_e32 v24, v24, v7
	v_add_f32_e32 v20, v16, v20
	v_sub_f32_e32 v13, v37, v31
	v_add_f32_e32 v16, v34, v3
	v_add_f32_e32 v3, v7, v25
	v_pk_fma_f32 v[26:27], v[26:27], 0.5, v[0:1] op_sel_hi:[1,0,1] neg_lo:[1,0,0] neg_hi:[1,0,0]
	v_pk_mul_f32 v[34:35], v[28:29], s[6:7] op_sel_hi:[1,0]
	v_pk_add_f32 v[36:37], v[4:5], v[18:19] neg_lo:[0,1] neg_hi:[0,1]
	s_mov_b32 s16, s3
	v_pk_add_f32 v[40:41], v[50:51], v[4:5] neg_lo:[0,1] neg_hi:[0,1]
	v_pk_add_f32 v[42:43], v[14:15], v[18:19] neg_lo:[0,1] neg_hi:[0,1]
	s_mov_b32 s18, 0x3f4f1bbd
	v_add_f32_e32 v24, v6, v24
	v_add_f32_e32 v6, v6, v3
	v_pk_add_f32 v[8:9], v[50:51], v[0:1]
	v_pk_mul_f32 v[38:39], v[36:37], s[16:17] op_sel_hi:[1,0]
	v_pk_add_f32 v[40:41], v[42:43], v[40:41]
	v_pk_add_f32 v[42:43], v[26:27], v[34:35] op_sel:[0,1] op_sel_hi:[1,0] neg_lo:[0,1] neg_hi:[0,1]
	v_pk_add_f32 v[26:27], v[26:27], v[34:35] op_sel:[0,1] op_sel_hi:[1,0]
	s_mov_b32 s20, s3
	s_mov_b32 s21, s18
	v_pk_add_f32 v[8:9], v[4:5], v[8:9]
	v_pk_add_f32 v[26:27], v[26:27], v[38:39] op_sel:[0,1] op_sel_hi:[1,0]
	v_pk_add_f32 v[34:35], v[42:43], v[38:39] op_sel:[0,1] op_sel_hi:[1,0] neg_lo:[0,1] neg_hi:[0,1]
	s_mov_b32 s19, s3
	v_pk_mul_f32 v[6:7], v[6:7], s[20:21] op_sel_hi:[0,1]
	v_pk_add_f32 v[8:9], v[18:19], v[8:9]
	v_mov_b32_e32 v38, v34
	v_mov_b32_e32 v39, v27
	v_pk_fma_f32 v[42:43], v[16:17], s[18:19], v[6:7] neg_lo:[0,0,1] neg_hi:[0,0,1]
	v_pk_fma_f32 v[6:7], v[16:17], s[18:19], v[6:7] op_sel_hi:[0,1,1]
	v_pk_add_f32 v[8:9], v[14:15], v[8:9]
	v_pk_add_f32 v[10:11], v[10:11], v[22:23]
	v_pk_fma_f32 v[38:39], v[40:41], s[2:3], v[38:39] op_sel_hi:[1,0,1]
	v_mov_b32_e32 v43, v7
	v_pk_add_f32 v[22:23], v[8:9], v[10:11]
	v_pk_add_f32 v[6:7], v[38:39], v[42:43]
	ds_write2_b64 v56, v[22:23], v[6:7] offset1:70
	v_pk_add_f32 v[4:5], v[4:5], v[50:51] neg_lo:[0,1] neg_hi:[0,1]
	v_pk_add_f32 v[6:7], v[18:19], v[14:15] neg_lo:[0,1] neg_hi:[0,1]
	v_add_f32_e32 v32, v31, v32
	v_pk_add_f32 v[4:5], v[6:7], v[4:5]
	v_pk_add_f32 v[6:7], v[14:15], v[50:51]
	s_mov_b32 s7, s2
	v_add_f32_e32 v32, v30, v32
	v_add_f32_e32 v30, v30, v13
	v_pk_fma_f32 v[0:1], v[6:7], 0.5, v[0:1] op_sel_hi:[1,0,1] neg_lo:[1,0,0] neg_hi:[1,0,0]
	s_mov_b32 s18, s2
	s_mov_b32 s19, s6
	v_pk_mul_f32 v[6:7], v[12:13], s[6:7] op_sel_hi:[0,1]
	v_pk_fma_f32 v[12:13], v[30:31], s[18:19], v[6:7] neg_lo:[0,0,1] neg_hi:[0,0,1]
	v_pk_fma_f32 v[6:7], v[30:31], s[18:19], v[6:7] op_sel_hi:[0,1,1]
	v_mov_b32_e32 v13, v7
	v_pk_mul_f32 v[6:7], v[36:37], s[6:7] op_sel_hi:[1,0]
	v_pk_mul_f32 v[14:15], v[28:29], s[16:17] op_sel_hi:[1,0]
	v_pk_add_f32 v[16:17], v[0:1], v[6:7] op_sel:[0,1] op_sel_hi:[1,0]
	v_pk_add_f32 v[0:1], v[0:1], v[6:7] op_sel:[0,1] op_sel_hi:[1,0] neg_lo:[0,1] neg_hi:[0,1]
	v_pk_add_f32 v[6:7], v[16:17], v[14:15] op_sel:[0,1] op_sel_hi:[1,0] neg_lo:[0,1] neg_hi:[0,1]
	v_pk_add_f32 v[0:1], v[0:1], v[14:15] op_sel:[0,1] op_sel_hi:[1,0]
	v_mov_b32_e32 v14, v6
	v_mov_b32_e32 v15, v1
	s_mov_b32 s16, 0xbe9e377a
	s_mov_b32 s17, s6
	v_pk_mul_f32 v[18:19], v[20:21], s[6:7] op_sel_hi:[0,1]
	v_mov_b32_e32 v1, v7
	v_pk_fma_f32 v[14:15], v[4:5], s[2:3], v[14:15] op_sel_hi:[1,0,1]
	v_pk_fma_f32 v[18:19], v[32:33], s[16:17], v[18:19] op_sel_hi:[0,1,1] neg_lo:[0,0,1] neg_hi:[0,0,1]
	v_pk_fma_f32 v[0:1], v[4:5], s[2:3], v[0:1] op_sel_hi:[1,0,1]
	v_pk_add_f32 v[16:17], v[14:15], v[12:13]
	v_pk_add_f32 v[4:5], v[0:1], v[18:19]
	ds_write2_b64 v56, v[16:17], v[4:5] offset0:140 offset1:210
	s_mov_b32 s6, 0xbf4f1bbd
	s_mov_b32 s7, s3
	v_pk_mul_f32 v[4:5], v[24:25], s[20:21] op_sel_hi:[0,1]
	v_mov_b32_e32 v27, v35
	v_pk_fma_f32 v[2:3], v[2:3], s[6:7], v[4:5] op_sel_hi:[0,1,1] neg_lo:[0,0,1] neg_hi:[0,0,1]
	v_pk_fma_f32 v[4:5], v[40:41], s[2:3], v[26:27] op_sel_hi:[1,0,1]
	v_pk_add_f32 v[8:9], v[8:9], v[10:11] neg_lo:[0,1] neg_hi:[0,1]
	v_pk_add_f32 v[6:7], v[4:5], v[2:3]
	v_add_u32_e32 v10, 0x800, v56
	ds_write2_b64 v10, v[6:7], v[8:9] offset0:24 offset1:94
	v_pk_add_f32 v[6:7], v[38:39], v[42:43] neg_lo:[0,1] neg_hi:[0,1]
	v_pk_add_f32 v[8:9], v[14:15], v[12:13] neg_lo:[0,1] neg_hi:[0,1]
	;; [unrolled: 1-line block ×4, first 2 shown]
	v_add_u32_e32 v4, 0x1000, v56
	ds_write2_b64 v10, v[6:7], v[8:9] offset0:164 offset1:234
	ds_write2_b64 v4, v[0:1], v[2:3] offset0:48 offset1:118
.LBB0_21:
	s_or_b64 exec, exec, s[0:1]
	s_waitcnt lgkmcnt(0)
	s_barrier
	s_and_b64 exec, exec, s[4:5]
	s_cbranch_execz .LBB0_23
; %bb.22:
	global_load_dwordx2 v[8:9], v56, s[12:13]
	global_load_dwordx2 v[10:11], v56, s[12:13] offset:560
	global_load_dwordx2 v[12:13], v56, s[12:13] offset:1120
	;; [unrolled: 1-line block ×3, first 2 shown]
	ds_read_b64 v[20:21], v56
	global_load_dwordx2 v[24:25], v56, s[12:13] offset:2240
	ds_read2_b64 v[0:3], v56 offset0:70 offset1:140
	global_load_dwordx2 v[26:27], v56, s[12:13] offset:2800
	global_load_dwordx2 v[28:29], v56, s[12:13] offset:3360
	;; [unrolled: 1-line block ×3, first 2 shown]
	v_add_u32_e32 v4, 0x400, v56
	ds_read2_b64 v[4:7], v4 offset0:82 offset1:152
	v_mad_u64_u32 v[18:19], s[0:1], s10, v58, 0
	v_mad_u64_u32 v[22:23], s[2:3], s8, v59, 0
	v_mov_b32_e32 v57, 0
	v_mov_b32_e32 v34, v19
	;; [unrolled: 1-line block ×3, first 2 shown]
	s_movk_i32 s3, 0x1000
	v_lshl_add_u64 v[36:37], s[12:13], 0, v[56:57]
	v_mad_u64_u32 v[34:35], s[4:5], s11, v58, v[34:35]
	v_mad_u64_u32 v[38:39], s[4:5], s9, v59, v[38:39]
	v_mov_b32_e32 v16, s14
	v_mov_b32_e32 v17, s15
	v_add_co_u32_e32 v36, vcc, s3, v36
	v_mov_b32_e32 v19, v34
	v_mov_b32_e32 v23, v38
	v_addc_co_u32_e32 v37, vcc, 0, v37, vcc
	v_lshl_add_u64 v[16:17], v[18:19], 3, v[16:17]
	s_mov_b32 s0, 0xe434a9b1
	v_mov_b32_e32 v40, 0x230
	v_lshl_add_u64 v[16:17], v[22:23], 3, v[16:17]
	s_mov_b32 s1, 0x3f5767dc
	s_mul_i32 s2, s9, 0x230
	v_mad_u64_u32 v[18:19], s[4:5], s8, v40, v[16:17]
	v_add_u32_e32 v19, s2, v19
	v_mad_u64_u32 v[22:23], s[4:5], s8, v40, v[18:19]
	ds_read_b64 v[32:33], v56 offset:5040
	v_add_u32_e32 v23, s2, v23
	s_waitcnt vmcnt(7) lgkmcnt(3)
	v_mul_f32_e32 v34, v21, v9
	v_mul_f32_e32 v9, v20, v9
	s_waitcnt vmcnt(6) lgkmcnt(2)
	v_mul_f32_e32 v35, v1, v11
	s_waitcnt vmcnt(5)
	v_mul_f32_e32 v38, v3, v13
	s_waitcnt vmcnt(4) lgkmcnt(1)
	v_mul_f32_e32 v39, v5, v15
	v_mul_f32_e32 v11, v0, v11
	;; [unrolled: 1-line block ×3, first 2 shown]
	v_fmac_f32_e32 v34, v20, v8
	v_fma_f32 v8, v8, v21, -v9
	v_fmac_f32_e32 v35, v0, v10
	v_fmac_f32_e32 v38, v2, v12
	;; [unrolled: 1-line block ×3, first 2 shown]
	v_fma_f32 v10, v10, v1, -v11
	v_fma_f32 v20, v12, v3, -v13
	v_cvt_f64_f32_e32 v[0:1], v34
	v_cvt_f64_f32_e32 v[2:3], v8
	;; [unrolled: 1-line block ×5, first 2 shown]
	global_load_dwordx2 v[38:39], v[36:37], off offset:384
	v_cvt_f64_f32_e32 v[10:11], v10
	v_cvt_f64_f32_e32 v[20:21], v20
	v_mul_f64 v[0:1], v[0:1], s[0:1]
	v_mul_f64 v[2:3], v[2:3], s[0:1]
	;; [unrolled: 1-line block ×6, first 2 shown]
	v_cvt_f32_f64_e32 v0, v[0:1]
	v_cvt_f32_f64_e32 v1, v[2:3]
	;; [unrolled: 1-line block ×6, first 2 shown]
	global_store_dwordx2 v[16:17], v[0:1], off
	global_store_dwordx2 v[18:19], v[2:3], off
	;; [unrolled: 1-line block ×3, first 2 shown]
	global_load_dwordx2 v[8:9], v[36:37], off offset:944
	v_mul_f32_e32 v15, v4, v15
	v_fma_f32 v0, v14, v5, -v15
	v_cvt_f64_f32_e32 v[0:1], v0
	v_mul_f64 v[0:1], v[0:1], s[0:1]
	v_cvt_f32_f64_e32 v5, v[0:1]
	s_waitcnt vmcnt(8)
	v_mul_f32_e32 v0, v7, v25
	v_fmac_f32_e32 v0, v6, v24
	v_mul_f64 v[34:35], v[34:35], s[0:1]
	v_mad_u64_u32 v[10:11], s[4:5], s8, v40, v[22:23]
	v_cvt_f64_f32_e32 v[0:1], v0
	v_cvt_f32_f64_e32 v4, v[34:35]
	v_add_u32_e32 v11, s2, v11
	v_mul_f64 v[0:1], v[0:1], s[0:1]
	global_store_dwordx2 v[10:11], v[4:5], off
	v_cvt_f32_f64_e32 v4, v[0:1]
	v_mul_f32_e32 v0, v6, v25
	v_fma_f32 v0, v24, v7, -v0
	v_cvt_f64_f32_e32 v[0:1], v0
	v_mul_f64 v[0:1], v[0:1], s[0:1]
	v_cvt_f32_f64_e32 v5, v[0:1]
	v_add_u32_e32 v0, 0x800, v56
	ds_read2_b64 v[0:3], v0 offset0:94 offset1:164
	v_mad_u64_u32 v[6:7], s[4:5], s8, v40, v[10:11]
	v_add_u32_e32 v7, s2, v7
	global_store_dwordx2 v[6:7], v[4:5], off
	s_waitcnt vmcnt(9) lgkmcnt(0)
	v_mul_f32_e32 v4, v1, v27
	v_fmac_f32_e32 v4, v0, v26
	v_mul_f32_e32 v0, v0, v27
	v_fma_f32 v0, v26, v1, -v0
	v_cvt_f64_f32_e32 v[4:5], v4
	v_cvt_f64_f32_e32 v[0:1], v0
	v_mul_f64 v[4:5], v[4:5], s[0:1]
	v_mul_f64 v[0:1], v[0:1], s[0:1]
	v_cvt_f32_f64_e32 v4, v[4:5]
	v_cvt_f32_f64_e32 v5, v[0:1]
	s_waitcnt vmcnt(8)
	v_mul_f32_e32 v0, v3, v29
	v_fmac_f32_e32 v0, v2, v28
	v_mad_u64_u32 v[6:7], s[4:5], s8, v40, v[6:7]
	v_cvt_f64_f32_e32 v[0:1], v0
	v_add_u32_e32 v7, s2, v7
	v_mul_f64 v[0:1], v[0:1], s[0:1]
	global_store_dwordx2 v[6:7], v[4:5], off
	v_cvt_f32_f64_e32 v4, v[0:1]
	v_mul_f32_e32 v0, v2, v29
	v_fma_f32 v0, v28, v3, -v0
	v_cvt_f64_f32_e32 v[0:1], v0
	v_mul_f64 v[0:1], v[0:1], s[0:1]
	v_cvt_f32_f64_e32 v5, v[0:1]
	v_add_u32_e32 v0, 0xc00, v56
	ds_read2_b64 v[0:3], v0 offset0:106 offset1:176
	v_mad_u64_u32 v[6:7], s[4:5], s8, v40, v[6:7]
	v_add_u32_e32 v7, s2, v7
	global_store_dwordx2 v[6:7], v[4:5], off
	s_waitcnt vmcnt(9) lgkmcnt(0)
	v_mul_f32_e32 v4, v1, v31
	v_fmac_f32_e32 v4, v0, v30
	v_mul_f32_e32 v0, v0, v31
	v_fma_f32 v0, v30, v1, -v0
	v_cvt_f64_f32_e32 v[4:5], v4
	v_cvt_f64_f32_e32 v[0:1], v0
	v_mul_f64 v[4:5], v[4:5], s[0:1]
	v_mul_f64 v[0:1], v[0:1], s[0:1]
	v_cvt_f32_f64_e32 v4, v[4:5]
	v_cvt_f32_f64_e32 v5, v[0:1]
	v_mad_u64_u32 v[0:1], s[4:5], s8, v40, v[6:7]
	v_add_u32_e32 v1, s2, v1
	global_store_dwordx2 v[0:1], v[4:5], off
	s_waitcnt vmcnt(9)
	v_mul_f32_e32 v4, v3, v39
	v_fmac_f32_e32 v4, v2, v38
	v_mul_f32_e32 v2, v2, v39
	v_fma_f32 v2, v38, v3, -v2
	v_cvt_f64_f32_e32 v[4:5], v4
	v_cvt_f64_f32_e32 v[2:3], v2
	v_mul_f64 v[4:5], v[4:5], s[0:1]
	v_mul_f64 v[2:3], v[2:3], s[0:1]
	v_cvt_f32_f64_e32 v4, v[4:5]
	v_cvt_f32_f64_e32 v5, v[2:3]
	s_waitcnt vmcnt(5)
	v_mul_f32_e32 v2, v33, v9
	v_fmac_f32_e32 v2, v32, v8
	v_cvt_f64_f32_e32 v[2:3], v2
	v_mul_f64 v[2:3], v[2:3], s[0:1]
	v_mad_u64_u32 v[0:1], s[4:5], s8, v40, v[0:1]
	v_cvt_f32_f64_e32 v2, v[2:3]
	v_mul_f32_e32 v3, v32, v9
	v_add_u32_e32 v1, s2, v1
	v_fma_f32 v3, v8, v33, -v3
	global_store_dwordx2 v[0:1], v[4:5], off
	v_cvt_f64_f32_e32 v[4:5], v3
	v_mul_f64 v[4:5], v[4:5], s[0:1]
	v_mad_u64_u32 v[0:1], s[0:1], s8, v40, v[0:1]
	v_cvt_f32_f64_e32 v3, v[4:5]
	v_add_u32_e32 v1, s2, v1
	global_store_dwordx2 v[0:1], v[2:3], off
.LBB0_23:
	s_endpgm
	.section	.rodata,"a",@progbits
	.p2align	6, 0x0
	.amdhsa_kernel bluestein_single_fwd_len700_dim1_sp_op_CI_CI
		.amdhsa_group_segment_fixed_size 5600
		.amdhsa_private_segment_fixed_size 0
		.amdhsa_kernarg_size 104
		.amdhsa_user_sgpr_count 2
		.amdhsa_user_sgpr_dispatch_ptr 0
		.amdhsa_user_sgpr_queue_ptr 0
		.amdhsa_user_sgpr_kernarg_segment_ptr 1
		.amdhsa_user_sgpr_dispatch_id 0
		.amdhsa_user_sgpr_kernarg_preload_length 0
		.amdhsa_user_sgpr_kernarg_preload_offset 0
		.amdhsa_user_sgpr_private_segment_size 0
		.amdhsa_uses_dynamic_stack 0
		.amdhsa_enable_private_segment 0
		.amdhsa_system_sgpr_workgroup_id_x 1
		.amdhsa_system_sgpr_workgroup_id_y 0
		.amdhsa_system_sgpr_workgroup_id_z 0
		.amdhsa_system_sgpr_workgroup_info 0
		.amdhsa_system_vgpr_workitem_id 0
		.amdhsa_next_free_vgpr 101
		.amdhsa_next_free_sgpr 25
		.amdhsa_accum_offset 104
		.amdhsa_reserve_vcc 1
		.amdhsa_float_round_mode_32 0
		.amdhsa_float_round_mode_16_64 0
		.amdhsa_float_denorm_mode_32 3
		.amdhsa_float_denorm_mode_16_64 3
		.amdhsa_dx10_clamp 1
		.amdhsa_ieee_mode 1
		.amdhsa_fp16_overflow 0
		.amdhsa_tg_split 0
		.amdhsa_exception_fp_ieee_invalid_op 0
		.amdhsa_exception_fp_denorm_src 0
		.amdhsa_exception_fp_ieee_div_zero 0
		.amdhsa_exception_fp_ieee_overflow 0
		.amdhsa_exception_fp_ieee_underflow 0
		.amdhsa_exception_fp_ieee_inexact 0
		.amdhsa_exception_int_div_zero 0
	.end_amdhsa_kernel
	.text
.Lfunc_end0:
	.size	bluestein_single_fwd_len700_dim1_sp_op_CI_CI, .Lfunc_end0-bluestein_single_fwd_len700_dim1_sp_op_CI_CI
                                        ; -- End function
	.section	.AMDGPU.csdata,"",@progbits
; Kernel info:
; codeLenInByte = 9552
; NumSgprs: 31
; NumVgprs: 101
; NumAgprs: 0
; TotalNumVgprs: 101
; ScratchSize: 0
; MemoryBound: 0
; FloatMode: 240
; IeeeMode: 1
; LDSByteSize: 5600 bytes/workgroup (compile time only)
; SGPRBlocks: 3
; VGPRBlocks: 12
; NumSGPRsForWavesPerEU: 31
; NumVGPRsForWavesPerEU: 101
; AccumOffset: 104
; Occupancy: 4
; WaveLimiterHint : 1
; COMPUTE_PGM_RSRC2:SCRATCH_EN: 0
; COMPUTE_PGM_RSRC2:USER_SGPR: 2
; COMPUTE_PGM_RSRC2:TRAP_HANDLER: 0
; COMPUTE_PGM_RSRC2:TGID_X_EN: 1
; COMPUTE_PGM_RSRC2:TGID_Y_EN: 0
; COMPUTE_PGM_RSRC2:TGID_Z_EN: 0
; COMPUTE_PGM_RSRC2:TIDIG_COMP_CNT: 0
; COMPUTE_PGM_RSRC3_GFX90A:ACCUM_OFFSET: 25
; COMPUTE_PGM_RSRC3_GFX90A:TG_SPLIT: 0
	.text
	.p2alignl 6, 3212836864
	.fill 256, 4, 3212836864
	.type	__hip_cuid_ce92763a54fe9f3,@object ; @__hip_cuid_ce92763a54fe9f3
	.section	.bss,"aw",@nobits
	.globl	__hip_cuid_ce92763a54fe9f3
__hip_cuid_ce92763a54fe9f3:
	.byte	0                               ; 0x0
	.size	__hip_cuid_ce92763a54fe9f3, 1

	.ident	"AMD clang version 19.0.0git (https://github.com/RadeonOpenCompute/llvm-project roc-6.4.0 25133 c7fe45cf4b819c5991fe208aaa96edf142730f1d)"
	.section	".note.GNU-stack","",@progbits
	.addrsig
	.addrsig_sym __hip_cuid_ce92763a54fe9f3
	.amdgpu_metadata
---
amdhsa.kernels:
  - .agpr_count:     0
    .args:
      - .actual_access:  read_only
        .address_space:  global
        .offset:         0
        .size:           8
        .value_kind:     global_buffer
      - .actual_access:  read_only
        .address_space:  global
        .offset:         8
        .size:           8
        .value_kind:     global_buffer
      - .actual_access:  read_only
        .address_space:  global
        .offset:         16
        .size:           8
        .value_kind:     global_buffer
      - .actual_access:  read_only
        .address_space:  global
        .offset:         24
        .size:           8
        .value_kind:     global_buffer
      - .actual_access:  read_only
        .address_space:  global
        .offset:         32
        .size:           8
        .value_kind:     global_buffer
      - .offset:         40
        .size:           8
        .value_kind:     by_value
      - .address_space:  global
        .offset:         48
        .size:           8
        .value_kind:     global_buffer
      - .address_space:  global
        .offset:         56
        .size:           8
        .value_kind:     global_buffer
      - .address_space:  global
        .offset:         64
        .size:           8
        .value_kind:     global_buffer
      - .address_space:  global
        .offset:         72
        .size:           8
        .value_kind:     global_buffer
      - .offset:         80
        .size:           4
        .value_kind:     by_value
      - .address_space:  global
        .offset:         88
        .size:           8
        .value_kind:     global_buffer
      - .address_space:  global
        .offset:         96
        .size:           8
        .value_kind:     global_buffer
    .group_segment_fixed_size: 5600
    .kernarg_segment_align: 8
    .kernarg_segment_size: 104
    .language:       OpenCL C
    .language_version:
      - 2
      - 0
    .max_flat_workgroup_size: 100
    .name:           bluestein_single_fwd_len700_dim1_sp_op_CI_CI
    .private_segment_fixed_size: 0
    .sgpr_count:     31
    .sgpr_spill_count: 0
    .symbol:         bluestein_single_fwd_len700_dim1_sp_op_CI_CI.kd
    .uniform_work_group_size: 1
    .uses_dynamic_stack: false
    .vgpr_count:     101
    .vgpr_spill_count: 0
    .wavefront_size: 64
amdhsa.target:   amdgcn-amd-amdhsa--gfx950
amdhsa.version:
  - 1
  - 2
...

	.end_amdgpu_metadata
